;; amdgpu-corpus repo=ROCm/rocFFT kind=compiled arch=gfx1030 opt=O3
	.text
	.amdgcn_target "amdgcn-amd-amdhsa--gfx1030"
	.amdhsa_code_object_version 6
	.protected	fft_rtc_back_len2700_factors_3_10_10_3_3_wgs_90_tpt_90_halfLds_half_ip_CI_unitstride_sbrr_dirReg ; -- Begin function fft_rtc_back_len2700_factors_3_10_10_3_3_wgs_90_tpt_90_halfLds_half_ip_CI_unitstride_sbrr_dirReg
	.globl	fft_rtc_back_len2700_factors_3_10_10_3_3_wgs_90_tpt_90_halfLds_half_ip_CI_unitstride_sbrr_dirReg
	.p2align	8
	.type	fft_rtc_back_len2700_factors_3_10_10_3_3_wgs_90_tpt_90_halfLds_half_ip_CI_unitstride_sbrr_dirReg,@function
fft_rtc_back_len2700_factors_3_10_10_3_3_wgs_90_tpt_90_halfLds_half_ip_CI_unitstride_sbrr_dirReg: ; @fft_rtc_back_len2700_factors_3_10_10_3_3_wgs_90_tpt_90_halfLds_half_ip_CI_unitstride_sbrr_dirReg
; %bb.0:
	s_clause 0x2
	s_load_dwordx4 s[8:11], s[4:5], 0x0
	s_load_dwordx2 s[2:3], s[4:5], 0x50
	s_load_dwordx2 s[12:13], s[4:5], 0x18
	v_mul_u32_u24_e32 v1, 0x2d9, v0
	v_mov_b32_e32 v3, 0
	v_add_nc_u32_sdwa v5, s6, v1 dst_sel:DWORD dst_unused:UNUSED_PAD src0_sel:DWORD src1_sel:WORD_1
	v_mov_b32_e32 v1, 0
	v_mov_b32_e32 v6, v3
	v_mov_b32_e32 v2, 0
	s_waitcnt lgkmcnt(0)
	v_cmp_lt_u64_e64 s0, s[10:11], 2
	s_and_b32 vcc_lo, exec_lo, s0
	s_cbranch_vccnz .LBB0_8
; %bb.1:
	s_load_dwordx2 s[0:1], s[4:5], 0x10
	v_mov_b32_e32 v1, 0
	s_add_u32 s6, s12, 8
	v_mov_b32_e32 v2, 0
	s_addc_u32 s7, s13, 0
	s_mov_b64 s[16:17], 1
	s_waitcnt lgkmcnt(0)
	s_add_u32 s14, s0, 8
	s_addc_u32 s15, s1, 0
.LBB0_2:                                ; =>This Inner Loop Header: Depth=1
	s_load_dwordx2 s[18:19], s[14:15], 0x0
                                        ; implicit-def: $vgpr7_vgpr8
	s_mov_b32 s0, exec_lo
	s_waitcnt lgkmcnt(0)
	v_or_b32_e32 v4, s19, v6
	v_cmpx_ne_u64_e32 0, v[3:4]
	s_xor_b32 s1, exec_lo, s0
	s_cbranch_execz .LBB0_4
; %bb.3:                                ;   in Loop: Header=BB0_2 Depth=1
	v_cvt_f32_u32_e32 v4, s18
	v_cvt_f32_u32_e32 v7, s19
	s_sub_u32 s0, 0, s18
	s_subb_u32 s20, 0, s19
	v_fmac_f32_e32 v4, 0x4f800000, v7
	v_rcp_f32_e32 v4, v4
	v_mul_f32_e32 v4, 0x5f7ffffc, v4
	v_mul_f32_e32 v7, 0x2f800000, v4
	v_trunc_f32_e32 v7, v7
	v_fmac_f32_e32 v4, 0xcf800000, v7
	v_cvt_u32_f32_e32 v7, v7
	v_cvt_u32_f32_e32 v4, v4
	v_mul_lo_u32 v8, s0, v7
	v_mul_hi_u32 v9, s0, v4
	v_mul_lo_u32 v10, s20, v4
	v_add_nc_u32_e32 v8, v9, v8
	v_mul_lo_u32 v9, s0, v4
	v_add_nc_u32_e32 v8, v8, v10
	v_mul_hi_u32 v10, v4, v9
	v_mul_lo_u32 v11, v4, v8
	v_mul_hi_u32 v12, v4, v8
	v_mul_hi_u32 v13, v7, v9
	v_mul_lo_u32 v9, v7, v9
	v_mul_hi_u32 v14, v7, v8
	v_mul_lo_u32 v8, v7, v8
	v_add_co_u32 v10, vcc_lo, v10, v11
	v_add_co_ci_u32_e32 v11, vcc_lo, 0, v12, vcc_lo
	v_add_co_u32 v9, vcc_lo, v10, v9
	v_add_co_ci_u32_e32 v9, vcc_lo, v11, v13, vcc_lo
	v_add_co_ci_u32_e32 v10, vcc_lo, 0, v14, vcc_lo
	v_add_co_u32 v8, vcc_lo, v9, v8
	v_add_co_ci_u32_e32 v9, vcc_lo, 0, v10, vcc_lo
	v_add_co_u32 v4, vcc_lo, v4, v8
	v_add_co_ci_u32_e32 v7, vcc_lo, v7, v9, vcc_lo
	v_mul_hi_u32 v8, s0, v4
	v_mul_lo_u32 v10, s20, v4
	v_mul_lo_u32 v9, s0, v7
	v_add_nc_u32_e32 v8, v8, v9
	v_mul_lo_u32 v9, s0, v4
	v_add_nc_u32_e32 v8, v8, v10
	v_mul_hi_u32 v10, v4, v9
	v_mul_lo_u32 v11, v4, v8
	v_mul_hi_u32 v12, v4, v8
	v_mul_hi_u32 v13, v7, v9
	v_mul_lo_u32 v9, v7, v9
	v_mul_hi_u32 v14, v7, v8
	v_mul_lo_u32 v8, v7, v8
	v_add_co_u32 v10, vcc_lo, v10, v11
	v_add_co_ci_u32_e32 v11, vcc_lo, 0, v12, vcc_lo
	v_add_co_u32 v9, vcc_lo, v10, v9
	v_add_co_ci_u32_e32 v9, vcc_lo, v11, v13, vcc_lo
	v_add_co_ci_u32_e32 v10, vcc_lo, 0, v14, vcc_lo
	v_add_co_u32 v8, vcc_lo, v9, v8
	v_add_co_ci_u32_e32 v9, vcc_lo, 0, v10, vcc_lo
	v_add_co_u32 v4, vcc_lo, v4, v8
	v_add_co_ci_u32_e32 v11, vcc_lo, v7, v9, vcc_lo
	v_mul_hi_u32 v13, v5, v4
	v_mad_u64_u32 v[9:10], null, v6, v4, 0
	v_mad_u64_u32 v[7:8], null, v5, v11, 0
	;; [unrolled: 1-line block ×3, first 2 shown]
	v_add_co_u32 v4, vcc_lo, v13, v7
	v_add_co_ci_u32_e32 v7, vcc_lo, 0, v8, vcc_lo
	v_add_co_u32 v4, vcc_lo, v4, v9
	v_add_co_ci_u32_e32 v4, vcc_lo, v7, v10, vcc_lo
	v_add_co_ci_u32_e32 v7, vcc_lo, 0, v12, vcc_lo
	v_add_co_u32 v4, vcc_lo, v4, v11
	v_add_co_ci_u32_e32 v9, vcc_lo, 0, v7, vcc_lo
	v_mul_lo_u32 v10, s19, v4
	v_mad_u64_u32 v[7:8], null, s18, v4, 0
	v_mul_lo_u32 v11, s18, v9
	v_sub_co_u32 v7, vcc_lo, v5, v7
	v_add3_u32 v8, v8, v11, v10
	v_sub_nc_u32_e32 v10, v6, v8
	v_subrev_co_ci_u32_e64 v10, s0, s19, v10, vcc_lo
	v_add_co_u32 v11, s0, v4, 2
	v_add_co_ci_u32_e64 v12, s0, 0, v9, s0
	v_sub_co_u32 v13, s0, v7, s18
	v_sub_co_ci_u32_e32 v8, vcc_lo, v6, v8, vcc_lo
	v_subrev_co_ci_u32_e64 v10, s0, 0, v10, s0
	v_cmp_le_u32_e32 vcc_lo, s18, v13
	v_cmp_eq_u32_e64 s0, s19, v8
	v_cndmask_b32_e64 v13, 0, -1, vcc_lo
	v_cmp_le_u32_e32 vcc_lo, s19, v10
	v_cndmask_b32_e64 v14, 0, -1, vcc_lo
	v_cmp_le_u32_e32 vcc_lo, s18, v7
	;; [unrolled: 2-line block ×3, first 2 shown]
	v_cndmask_b32_e64 v15, 0, -1, vcc_lo
	v_cmp_eq_u32_e32 vcc_lo, s19, v10
	v_cndmask_b32_e64 v7, v15, v7, s0
	v_cndmask_b32_e32 v10, v14, v13, vcc_lo
	v_add_co_u32 v13, vcc_lo, v4, 1
	v_add_co_ci_u32_e32 v14, vcc_lo, 0, v9, vcc_lo
	v_cmp_ne_u32_e32 vcc_lo, 0, v10
	v_cndmask_b32_e32 v8, v14, v12, vcc_lo
	v_cndmask_b32_e32 v10, v13, v11, vcc_lo
	v_cmp_ne_u32_e32 vcc_lo, 0, v7
	v_cndmask_b32_e32 v8, v9, v8, vcc_lo
	v_cndmask_b32_e32 v7, v4, v10, vcc_lo
.LBB0_4:                                ;   in Loop: Header=BB0_2 Depth=1
	s_andn2_saveexec_b32 s0, s1
	s_cbranch_execz .LBB0_6
; %bb.5:                                ;   in Loop: Header=BB0_2 Depth=1
	v_cvt_f32_u32_e32 v4, s18
	s_sub_i32 s1, 0, s18
	v_rcp_iflag_f32_e32 v4, v4
	v_mul_f32_e32 v4, 0x4f7ffffe, v4
	v_cvt_u32_f32_e32 v4, v4
	v_mul_lo_u32 v7, s1, v4
	v_mul_hi_u32 v7, v4, v7
	v_add_nc_u32_e32 v4, v4, v7
	v_mul_hi_u32 v4, v5, v4
	v_mul_lo_u32 v7, v4, s18
	v_add_nc_u32_e32 v8, 1, v4
	v_sub_nc_u32_e32 v7, v5, v7
	v_subrev_nc_u32_e32 v9, s18, v7
	v_cmp_le_u32_e32 vcc_lo, s18, v7
	v_cndmask_b32_e32 v7, v7, v9, vcc_lo
	v_cndmask_b32_e32 v4, v4, v8, vcc_lo
	v_cmp_le_u32_e32 vcc_lo, s18, v7
	v_add_nc_u32_e32 v8, 1, v4
	v_cndmask_b32_e32 v7, v4, v8, vcc_lo
	v_mov_b32_e32 v8, v3
.LBB0_6:                                ;   in Loop: Header=BB0_2 Depth=1
	s_or_b32 exec_lo, exec_lo, s0
	s_load_dwordx2 s[0:1], s[6:7], 0x0
	v_mul_lo_u32 v4, v8, s18
	v_mul_lo_u32 v11, v7, s19
	v_mad_u64_u32 v[9:10], null, v7, s18, 0
	s_add_u32 s16, s16, 1
	s_addc_u32 s17, s17, 0
	s_add_u32 s6, s6, 8
	s_addc_u32 s7, s7, 0
	;; [unrolled: 2-line block ×3, first 2 shown]
	v_add3_u32 v4, v10, v11, v4
	v_sub_co_u32 v5, vcc_lo, v5, v9
	v_sub_co_ci_u32_e32 v4, vcc_lo, v6, v4, vcc_lo
	s_waitcnt lgkmcnt(0)
	v_mul_lo_u32 v6, s1, v5
	v_mul_lo_u32 v4, s0, v4
	v_mad_u64_u32 v[1:2], null, s0, v5, v[1:2]
	v_cmp_ge_u64_e64 s0, s[16:17], s[10:11]
	s_and_b32 vcc_lo, exec_lo, s0
	v_add3_u32 v2, v6, v2, v4
	s_cbranch_vccnz .LBB0_9
; %bb.7:                                ;   in Loop: Header=BB0_2 Depth=1
	v_mov_b32_e32 v5, v7
	v_mov_b32_e32 v6, v8
	s_branch .LBB0_2
.LBB0_8:
	v_mov_b32_e32 v8, v6
	v_mov_b32_e32 v7, v5
.LBB0_9:
	s_lshl_b64 s[0:1], s[10:11], 3
	v_mul_hi_u32 v5, 0x2d82d83, v0
	s_add_u32 s0, s12, s0
	s_addc_u32 s1, s13, s1
                                        ; implicit-def: $vgpr23
                                        ; implicit-def: $vgpr21
                                        ; implicit-def: $vgpr25
                                        ; implicit-def: $vgpr20
                                        ; implicit-def: $vgpr17
                                        ; implicit-def: $vgpr32
                                        ; implicit-def: $vgpr28
                                        ; implicit-def: $vgpr33
                                        ; implicit-def: $vgpr22
                                        ; implicit-def: $vgpr13
                                        ; implicit-def: $vgpr36
                                        ; implicit-def: $vgpr30
                                        ; implicit-def: $vgpr37
                                        ; implicit-def: $vgpr29
                                        ; implicit-def: $vgpr16
                                        ; implicit-def: $vgpr40
                                        ; implicit-def: $vgpr34
                                        ; implicit-def: $vgpr41
                                        ; implicit-def: $vgpr31
                                        ; implicit-def: $vgpr19
                                        ; implicit-def: $vgpr43
                                        ; implicit-def: $vgpr38
                                        ; implicit-def: $vgpr44
                                        ; implicit-def: $vgpr35
                                        ; implicit-def: $vgpr11
                                        ; implicit-def: $vgpr49
                                        ; implicit-def: $vgpr42
                                        ; implicit-def: $vgpr51
                                        ; implicit-def: $vgpr39
                                        ; implicit-def: $vgpr9
                                        ; implicit-def: $vgpr55
                                        ; implicit-def: $vgpr47
                                        ; implicit-def: $vgpr56
                                        ; implicit-def: $vgpr48
                                        ; implicit-def: $vgpr6
                                        ; implicit-def: $vgpr10
                                        ; implicit-def: $vgpr57
                                        ; implicit-def: $vgpr53
                                        ; implicit-def: $vgpr58
                                        ; implicit-def: $vgpr54
                                        ; implicit-def: $vgpr12
                                        ; implicit-def: $vgpr59
                                        ; implicit-def: $vgpr46
                                        ; implicit-def: $vgpr60
                                        ; implicit-def: $vgpr45
                                        ; implicit-def: $vgpr14
                                        ; implicit-def: $vgpr61
                                        ; implicit-def: $vgpr52
                                        ; implicit-def: $vgpr62
                                        ; implicit-def: $vgpr50
                                        ; implicit-def: $vgpr15
                                        ; implicit-def: $vgpr18
	s_load_dwordx2 s[0:1], s[0:1], 0x0
	s_load_dwordx2 s[4:5], s[4:5], 0x20
	s_waitcnt lgkmcnt(0)
	v_mul_lo_u32 v3, s0, v8
	v_mul_lo_u32 v4, s1, v7
	v_mad_u64_u32 v[1:2], null, s0, v7, v[1:2]
	v_cmp_gt_u64_e32 vcc_lo, s[4:5], v[7:8]
                                        ; implicit-def: $vgpr7
                                        ; implicit-def: $vgpr8
	v_add3_u32 v2, v4, v2, v3
	v_mul_u32_u24_e32 v3, 0x5a, v5
                                        ; implicit-def: $vgpr4
                                        ; implicit-def: $vgpr5
	v_lshlrev_b64 v[26:27], 2, v[1:2]
	v_sub_nc_u32_e32 v24, v0, v3
                                        ; implicit-def: $vgpr0
                                        ; implicit-def: $vgpr1
                                        ; implicit-def: $vgpr2
                                        ; implicit-def: $vgpr3
	s_and_saveexec_b32 s1, vcc_lo
	s_cbranch_execz .LBB0_11
; %bb.10:
	v_mov_b32_e32 v25, 0
	v_add_co_u32 v2, s0, s2, v26
	v_add_co_ci_u32_e64 v3, s0, s3, v27, s0
	v_lshlrev_b64 v[0:1], 2, v[24:25]
	v_add_co_u32 v0, s0, v2, v0
	v_add_co_ci_u32_e64 v1, s0, v3, v1, s0
	v_add_co_u32 v2, s0, 0x800, v0
	v_add_co_ci_u32_e64 v3, s0, 0, v1, s0
	;; [unrolled: 2-line block ×5, first 2 shown]
	s_clause 0x19
	global_load_dword v50, v[2:3], off offset:1552
	global_load_dword v45, v[2:3], off offset:1912
	;; [unrolled: 1-line block ×4, first 2 shown]
	global_load_dword v18, v[0:1], off
	global_load_dword v14, v[0:1], off offset:360
	global_load_dword v12, v[0:1], off offset:720
	;; [unrolled: 1-line block ×21, first 2 shown]
	v_add_co_u32 v0, s0, 0x2800, v0
	v_add_co_ci_u32_e64 v1, s0, 0, v1, s0
	s_clause 0x3
	global_load_dword v28, v[20:21], off offset:1888
	global_load_dword v20, v[4:5], off offset:696
	;; [unrolled: 1-line block ×4, first 2 shown]
	s_waitcnt vmcnt(25)
	v_lshrrev_b32_e32 v15, 16, v18
	s_waitcnt vmcnt(24)
	v_lshrrev_b32_e32 v8, 16, v14
	;; [unrolled: 2-line block ×17, first 2 shown]
	v_lshrrev_b32_e32 v62, 16, v50
	v_lshrrev_b32_e32 v60, 16, v45
	;; [unrolled: 1-line block ×4, first 2 shown]
	s_waitcnt vmcnt(8)
	v_lshrrev_b32_e32 v43, 16, v38
	s_waitcnt vmcnt(7)
	v_lshrrev_b32_e32 v40, 16, v34
	;; [unrolled: 2-line block ×7, first 2 shown]
	v_lshrrev_b32_e32 v25, 16, v20
	s_waitcnt vmcnt(0)
	v_lshrrev_b32_e32 v23, 16, v21
.LBB0_11:
	s_or_b32 exec_lo, exec_lo, s1
	v_add_f16_e32 v65, v61, v62
	v_add_f16_e32 v63, v52, v50
	;; [unrolled: 1-line block ×3, first 2 shown]
	v_sub_f16_e32 v66, v62, v61
	v_add_f16_e32 v62, v62, v15
	v_sub_f16_e32 v50, v50, v52
	v_fmac_f16_e32 v15, -0.5, v65
	v_fmac_f16_e32 v18, -0.5, v63
	v_add_f16_e32 v52, v52, v64
	v_add_f16_e32 v70, v61, v62
	;; [unrolled: 1-line block ×3, first 2 shown]
	v_fmamk_f16 v71, v50, 0x3aee, v15
	v_fmac_f16_e32 v15, 0xbaee, v50
	v_add_f16_e32 v50, v59, v60
	v_add_f16_e32 v62, v45, v14
	v_fmac_f16_e32 v14, -0.5, v61
	v_sub_f16_e32 v61, v60, v59
	v_add_f16_e32 v60, v60, v8
	v_fmac_f16_e32 v8, -0.5, v50
	v_sub_f16_e32 v45, v45, v46
	v_mad_u32_u24 v85, v24, 6, 0
	v_fmamk_f16 v63, v66, 0xbaee, v18
	v_add_f16_e32 v72, v59, v60
	v_add_f16_e32 v59, v53, v54
	v_fmamk_f16 v73, v45, 0x3aee, v8
	v_fmac_f16_e32 v8, 0xbaee, v45
	v_add_f16_e32 v45, v57, v58
	v_add_f16_e32 v60, v54, v12
	v_fmac_f16_e32 v12, -0.5, v59
	v_sub_f16_e32 v59, v58, v57
	v_add_f16_e32 v58, v58, v7
	v_fmac_f16_e32 v7, -0.5, v45
	v_add_f16_e32 v45, v53, v60
	v_sub_f16_e32 v53, v54, v53
	v_fmac_f16_e32 v18, 0x3aee, v66
	v_add_f16_e32 v74, v57, v58
	v_add_f16_e32 v57, v47, v48
	v_add_f16_e32 v58, v48, v10
	v_fmamk_f16 v75, v53, 0x3aee, v7
	v_fmac_f16_e32 v7, 0xbaee, v53
	v_add_f16_e32 v53, v55, v56
	v_fmac_f16_e32 v10, -0.5, v57
	v_sub_f16_e32 v57, v56, v55
	v_add_f16_e32 v56, v56, v6
	v_add_f16_e32 v50, v46, v62
	v_fmac_f16_e32 v6, -0.5, v53
	v_add_f16_e32 v53, v47, v58
	v_sub_f16_e32 v47, v48, v47
	v_add_f16_e32 v76, v55, v56
	v_add_f16_e32 v55, v42, v39
	;; [unrolled: 1-line block ×3, first 2 shown]
	v_sub_f16_e32 v39, v39, v42
	v_fmamk_f16 v77, v47, 0x3aee, v6
	v_fmac_f16_e32 v6, 0xbaee, v47
	v_add_f16_e32 v47, v49, v51
	v_fmac_f16_e32 v9, -0.5, v55
	v_sub_f16_e32 v55, v51, v49
	v_add_f16_e32 v51, v51, v5
	v_fmamk_f16 v46, v61, 0xbaee, v14
	v_fmac_f16_e32 v5, -0.5, v47
	v_fmac_f16_e32 v14, 0x3aee, v61
	v_fmamk_f16 v54, v59, 0xbaee, v12
	v_add_f16_e32 v78, v49, v51
	v_add_f16_e32 v49, v38, v35
	v_fmamk_f16 v79, v39, 0x3aee, v5
	v_fmac_f16_e32 v5, 0xbaee, v39
	v_add_f16_e32 v39, v43, v44
	v_add_f16_e32 v51, v35, v11
	v_fmac_f16_e32 v11, -0.5, v49
	v_sub_f16_e32 v49, v44, v43
	v_add_f16_e32 v44, v44, v3
	v_fmac_f16_e32 v3, -0.5, v39
	v_sub_f16_e32 v35, v35, v38
	v_fmac_f16_e32 v12, 0x3aee, v59
	v_fmamk_f16 v48, v57, 0xbaee, v10
	v_add_f16_e32 v80, v43, v44
	v_add_f16_e32 v43, v34, v31
	v_fmamk_f16 v81, v35, 0x3aee, v3
	v_fmac_f16_e32 v3, 0xbaee, v35
	v_add_f16_e32 v35, v40, v41
	v_add_f16_e32 v44, v31, v19
	v_fmac_f16_e32 v19, -0.5, v43
	v_sub_f16_e32 v43, v41, v40
	v_add_f16_e32 v41, v41, v4
	v_fmac_f16_e32 v4, -0.5, v35
	v_sub_f16_e32 v31, v31, v34
	v_add_f16_e32 v35, v34, v44
	v_fmamk_f16 v34, v43, 0xbaee, v19
	v_add_f16_e32 v40, v40, v41
	v_add_f16_e32 v41, v30, v29
	v_fmamk_f16 v82, v31, 0x3aee, v4
	v_fmac_f16_e32 v4, 0xbaee, v31
	v_add_f16_e32 v31, v36, v37
	v_fmac_f16_e32 v19, 0x3aee, v43
	v_add_f16_e32 v43, v29, v16
	v_fmac_f16_e32 v16, -0.5, v41
	v_sub_f16_e32 v41, v37, v36
	v_add_f16_e32 v37, v37, v2
	v_fmac_f16_e32 v2, -0.5, v31
	v_sub_f16_e32 v29, v29, v30
	v_add_f16_e32 v31, v30, v43
	v_fmamk_f16 v30, v41, 0xbaee, v16
	v_fmac_f16_e32 v16, 0x3aee, v41
	v_add_f16_e32 v41, v36, v37
	v_add_f16_e32 v36, v28, v22
	v_fmamk_f16 v83, v29, 0x3aee, v2
	v_fmac_f16_e32 v2, 0xbaee, v29
	v_add_f16_e32 v29, v32, v33
	v_add_f16_e32 v37, v22, v13
	v_fmac_f16_e32 v13, -0.5, v36
	v_sub_f16_e32 v36, v33, v32
	v_add_f16_e32 v33, v33, v1
	v_fmac_f16_e32 v1, -0.5, v29
	v_add_f16_e32 v29, v28, v37
	v_sub_f16_e32 v22, v22, v28
	v_add_f16_e32 v28, v21, v20
	v_add_f16_e32 v32, v32, v33
	;; [unrolled: 1-line block ×3, first 2 shown]
	v_sub_f16_e32 v20, v20, v21
	v_fmamk_f16 v84, v22, 0x3aee, v1
	v_fmac_f16_e32 v1, 0xbaee, v22
	v_add_f16_e32 v22, v23, v25
	v_fmac_f16_e32 v17, -0.5, v28
	v_sub_f16_e32 v28, v25, v23
	v_add_f16_e32 v25, v25, v0
	v_fmac_f16_e32 v10, 0x3aee, v57
	v_fmac_f16_e32 v0, -0.5, v22
	v_add_f16_e32 v22, v21, v33
	v_fmamk_f16 v21, v28, 0xbaee, v17
	v_fmac_f16_e32 v17, 0x3aee, v28
	v_lshlrev_b32_e32 v28, 1, v24
	v_add_f16_e32 v47, v42, v56
	v_fmamk_f16 v42, v55, 0xbaee, v9
	v_fmac_f16_e32 v9, 0x3aee, v55
	v_add_f16_e32 v39, v38, v51
	v_fmamk_f16 v38, v49, 0xbaee, v11
	v_fmac_f16_e32 v11, 0x3aee, v49
	v_fmamk_f16 v37, v36, 0xbaee, v13
	v_add_f16_e32 v23, v23, v25
	ds_write_b16 v85, v52
	ds_write_b16 v85, v63 offset:2
	ds_write_b16 v85, v18 offset:4
	;; [unrolled: 1-line block ×24, first 2 shown]
	v_add_nc_u32_e32 v34, 0, v28
	v_add_nc_u32_e32 v25, 0x5a, v24
	v_fmac_f16_e32 v13, 0x3aee, v36
	v_fmamk_f16 v86, v20, 0x3aee, v0
	v_fmac_f16_e32 v0, 0xbaee, v20
	ds_write_b16 v85, v37 offset:4322
	ds_write_b16 v85, v13 offset:4324
	ds_write_b16 v85, v22 offset:4860
	ds_write_b16 v85, v21 offset:4862
	ds_write_b16 v85, v17 offset:4864
	s_waitcnt lgkmcnt(0)
	s_barrier
	buffer_gl0_inv
	ds_read_u16 v38, v34
	ds_read_u16 v35, v34 offset:180
	ds_read_u16 v51, v34 offset:2880
	;; [unrolled: 1-line block ×29, first 2 shown]
	s_waitcnt lgkmcnt(0)
	s_barrier
	buffer_gl0_inv
	ds_write_b16 v85, v70
	ds_write_b16 v85, v71 offset:2
	ds_write_b16 v85, v15 offset:4
	;; [unrolled: 1-line block ×24, first 2 shown]
	v_and_b32_e32 v32, 0xff, v25
	ds_write_b16 v85, v84 offset:4322
	ds_write_b16 v85, v1 offset:4324
	ds_write_b16 v85, v23 offset:4860
	ds_write_b16 v85, v86 offset:4862
	ds_write_b16 v85, v0 offset:4864
	v_and_b32_e32 v31, 0xff, v24
	v_mul_lo_u16 v0, 0xab, v32
	v_mov_b32_e32 v29, 9
	v_add_nc_u32_e32 v30, 0xb4, v24
	s_waitcnt lgkmcnt(0)
	v_mul_lo_u16 v7, 0xab, v31
	v_lshrrev_b16 v39, 9, v0
	s_barrier
	buffer_gl0_inv
	v_lshrrev_b16 v36, 9, v7
	v_mul_lo_u16 v8, v39, 3
	v_mul_lo_u16 v5, v36, 3
	v_sub_nc_u16 v40, v25, v8
	v_sub_nc_u16 v37, v24, v5
	v_mul_u32_u24_sdwa v8, v40, v29 dst_sel:DWORD dst_unused:UNUSED_PAD src0_sel:BYTE_0 src1_sel:DWORD
	v_mul_u32_u24_sdwa v2, v37, v29 dst_sel:DWORD dst_unused:UNUSED_PAD src0_sel:BYTE_0 src1_sel:DWORD
	v_lshlrev_b32_e32 v72, 2, v8
	v_mov_b32_e32 v8, 0xaaab
	v_lshlrev_b32_e32 v70, 2, v2
	s_clause 0x1
	global_load_dwordx4 v[20:23], v72, s[8:9]
	global_load_dwordx4 v[16:19], v72, s[8:9] offset:16
	v_mul_u32_u24_sdwa v8, v30, v8 dst_sel:DWORD dst_unused:UNUSED_PAD src0_sel:WORD_0 src1_sel:DWORD
	s_clause 0x1
	global_load_dwordx4 v[4:7], v70, s[8:9]
	global_load_dwordx4 v[0:3], v70, s[8:9] offset:16
	v_lshrrev_b32_e32 v41, 17, v8
	v_mul_lo_u16 v8, v41, 3
	v_sub_nc_u16 v42, v30, v8
	v_mul_u32_u24_sdwa v8, v42, v29 dst_sel:DWORD dst_unused:UNUSED_PAD src0_sel:WORD_0 src1_sel:DWORD
	v_lshlrev_b32_e32 v73, 2, v8
	s_clause 0x4
	global_load_dwordx4 v[8:11], v73, s[8:9]
	global_load_dwordx4 v[12:15], v73, s[8:9] offset:16
	global_load_dword v71, v70, s[8:9] offset:32
	global_load_dword v70, v72, s[8:9] offset:32
	;; [unrolled: 1-line block ×3, first 2 shown]
	ds_read_u16 v83, v34 offset:540
	ds_read_u16 v73, v34 offset:720
	;; [unrolled: 1-line block ×28, first 2 shown]
	s_waitcnt vmcnt(6) lgkmcnt(27)
	v_mul_f16_sdwa v101, v83, v4 dst_sel:DWORD dst_unused:UNUSED_PAD src0_sel:DWORD src1_sel:WORD_1
	v_mul_f16_sdwa v102, v67, v4 dst_sel:DWORD dst_unused:UNUSED_PAD src0_sel:DWORD src1_sel:WORD_1
	s_waitcnt lgkmcnt(22)
	v_mul_f16_sdwa v105, v89, v6 dst_sel:DWORD dst_unused:UNUSED_PAD src0_sel:DWORD src1_sel:WORD_1
	v_mul_f16_sdwa v106, v69, v6 dst_sel:DWORD dst_unused:UNUSED_PAD src0_sel:DWORD src1_sel:WORD_1
	s_waitcnt lgkmcnt(15)
	v_mul_f16_sdwa v107, v96, v7 dst_sel:DWORD dst_unused:UNUSED_PAD src0_sel:DWORD src1_sel:WORD_1
	v_fmac_f16_e32 v101, v67, v4
	v_mul_f16_sdwa v67, v65, v7 dst_sel:DWORD dst_unused:UNUSED_PAD src0_sel:DWORD src1_sel:WORD_1
	v_mul_f16_sdwa v103, v90, v5 dst_sel:DWORD dst_unused:UNUSED_PAD src0_sel:DWORD src1_sel:WORD_1
	;; [unrolled: 1-line block ×3, first 2 shown]
	v_fma_f16 v102, v83, v4, -v102
	s_waitcnt vmcnt(5)
	v_mul_f16_sdwa v108, v94, v0 dst_sel:DWORD dst_unused:UNUSED_PAD src0_sel:DWORD src1_sel:WORD_1
	v_mul_f16_sdwa v4, v63, v0 dst_sel:DWORD dst_unused:UNUSED_PAD src0_sel:DWORD src1_sel:WORD_1
	v_fmac_f16_e32 v105, v69, v6
	v_fma_f16 v106, v89, v6, -v106
	s_waitcnt lgkmcnt(10)
	v_mul_f16_sdwa v109, v97, v2 dst_sel:DWORD dst_unused:UNUSED_PAD src0_sel:DWORD src1_sel:WORD_1
	v_fmac_f16_e32 v107, v65, v7
	v_mul_f16_sdwa v6, v66, v2 dst_sel:DWORD dst_unused:UNUSED_PAD src0_sel:DWORD src1_sel:WORD_1
	v_fma_f16 v65, v96, v7, -v67
	s_waitcnt lgkmcnt(6)
	v_mul_f16_sdwa v67, v98, v3 dst_sel:DWORD dst_unused:UNUSED_PAD src0_sel:DWORD src1_sel:WORD_1
	v_mul_f16_sdwa v7, v61, v3 dst_sel:DWORD dst_unused:UNUSED_PAD src0_sel:DWORD src1_sel:WORD_1
	v_fmac_f16_e32 v103, v64, v5
	v_fma_f16 v64, v90, v5, -v104
	v_mul_f16_sdwa v104, v99, v1 dst_sel:DWORD dst_unused:UNUSED_PAD src0_sel:DWORD src1_sel:WORD_1
	v_mul_f16_sdwa v5, v68, v1 dst_sel:DWORD dst_unused:UNUSED_PAD src0_sel:DWORD src1_sel:WORD_1
	v_fmac_f16_e32 v108, v63, v0
	v_fma_f16 v63, v94, v0, -v4
	v_fmac_f16_e32 v109, v66, v2
	v_fma_f16 v66, v97, v2, -v6
	;; [unrolled: 2-line block ×3, first 2 shown]
	v_mul_f16_sdwa v2, v73, v20 dst_sel:DWORD dst_unused:UNUSED_PAD src0_sel:DWORD src1_sel:WORD_1
	v_mul_f16_sdwa v0, v57, v20 dst_sel:DWORD dst_unused:UNUSED_PAD src0_sel:DWORD src1_sel:WORD_1
	;; [unrolled: 1-line block ×5, first 2 shown]
	v_fmac_f16_e32 v104, v68, v1
	v_fma_f16 v68, v99, v1, -v5
	v_mul_f16_sdwa v1, v56, v21 dst_sel:DWORD dst_unused:UNUSED_PAD src0_sel:DWORD src1_sel:WORD_1
	v_mul_f16_sdwa v94, v76, v22 dst_sel:DWORD dst_unused:UNUSED_PAD src0_sel:DWORD src1_sel:WORD_1
	;; [unrolled: 1-line block ×7, first 2 shown]
	v_fmac_f16_e32 v2, v57, v20
	v_fma_f16 v20, v73, v20, -v0
	v_fmac_f16_e32 v83, v56, v21
	v_fma_f16 v56, v76, v22, -v3
	v_fma_f16 v73, v80, v17, -v6
	s_waitcnt vmcnt(4)
	v_mul_f16_sdwa v6, v86, v9 dst_sel:DWORD dst_unused:UNUSED_PAD src0_sel:DWORD src1_sel:WORD_1
	v_mul_f16_sdwa v3, v55, v9 dst_sel:DWORD dst_unused:UNUSED_PAD src0_sel:DWORD src1_sel:WORD_1
	;; [unrolled: 1-line block ×3, first 2 shown]
	s_waitcnt lgkmcnt(5)
	v_mul_f16_sdwa v90, v95, v19 dst_sel:DWORD dst_unused:UNUSED_PAD src0_sel:DWORD src1_sel:WORD_1
	v_mul_f16_sdwa v57, v50, v19 dst_sel:DWORD dst_unused:UNUSED_PAD src0_sel:DWORD src1_sel:WORD_1
	v_fma_f16 v21, v75, v21, -v1
	v_fmac_f16_e32 v94, v60, v22
	v_fmac_f16_e32 v69, v58, v23
	v_fma_f16 v23, v77, v23, -v4
	v_fma_f16 v22, v81, v16, -v5
	v_fmac_f16_e32 v89, v62, v17
	v_fma_f16 v17, v91, v18, -v7
	v_mul_f16_sdwa v0, v74, v8 dst_sel:DWORD dst_unused:UNUSED_PAD src0_sel:DWORD src1_sel:WORD_1
	v_mul_f16_sdwa v1, v49, v8 dst_sel:DWORD dst_unused:UNUSED_PAD src0_sel:DWORD src1_sel:WORD_1
	v_fmac_f16_e32 v6, v55, v9
	v_fma_f16 v3, v86, v9, -v3
	v_mul_f16_sdwa v4, v52, v10 dst_sel:DWORD dst_unused:UNUSED_PAD src0_sel:DWORD src1_sel:WORD_1
	v_mul_f16_sdwa v7, v79, v11 dst_sel:DWORD dst_unused:UNUSED_PAD src0_sel:DWORD src1_sel:WORD_1
	;; [unrolled: 1-line block ×3, first 2 shown]
	s_waitcnt vmcnt(3)
	v_mul_f16_sdwa v9, v54, v12 dst_sel:DWORD dst_unused:UNUSED_PAD src0_sel:DWORD src1_sel:WORD_1
	v_fmac_f16_e32 v97, v59, v18
	v_fmac_f16_e32 v90, v50, v19
	v_fma_f16 v18, v95, v19, -v57
	v_fmac_f16_e32 v0, v49, v8
	v_fma_f16 v1, v74, v8, -v1
	v_mul_f16_sdwa v19, v82, v10 dst_sel:DWORD dst_unused:UNUSED_PAD src0_sel:DWORD src1_sel:WORD_1
	v_fma_f16 v50, v82, v10, -v4
	v_fmac_f16_e32 v7, v46, v11
	v_fma_f16 v8, v79, v11, -v5
	v_fma_f16 v4, v88, v12, -v9
	v_mul_f16_sdwa v5, v48, v13 dst_sel:DWORD dst_unused:UNUSED_PAD src0_sel:DWORD src1_sel:WORD_1
	v_mul_f16_sdwa v46, v78, v14 dst_sel:DWORD dst_unused:UNUSED_PAD src0_sel:DWORD src1_sel:WORD_1
	;; [unrolled: 1-line block ×4, first 2 shown]
	v_fmac_f16_e32 v19, v52, v10
	v_mul_f16_sdwa v49, v88, v12 dst_sel:DWORD dst_unused:UNUSED_PAD src0_sel:DWORD src1_sel:WORD_1
	v_mul_f16_sdwa v11, v84, v13 dst_sel:DWORD dst_unused:UNUSED_PAD src0_sel:DWORD src1_sel:WORD_1
	v_fma_f16 v10, v84, v13, -v5
	v_fmac_f16_e32 v46, v45, v14
	v_fma_f16 v5, v78, v14, -v9
	v_mul_f16_sdwa v9, v53, v15 dst_sel:DWORD dst_unused:UNUSED_PAD src0_sel:DWORD src1_sel:WORD_1
	s_waitcnt vmcnt(2) lgkmcnt(1)
	v_mul_f16_sdwa v14, v93, v71 dst_sel:DWORD dst_unused:UNUSED_PAD src0_sel:DWORD src1_sel:WORD_1
	v_fmac_f16_e32 v96, v51, v16
	v_fmac_f16_e32 v49, v54, v12
	v_mul_f16_sdwa v16, v85, v15 dst_sel:DWORD dst_unused:UNUSED_PAD src0_sel:DWORD src1_sel:WORD_1
	v_fmac_f16_e32 v11, v48, v13
	v_mul_f16_sdwa v13, v47, v71 dst_sel:DWORD dst_unused:UNUSED_PAD src0_sel:DWORD src1_sel:WORD_1
	s_waitcnt vmcnt(1)
	v_mul_f16_sdwa v45, v92, v70 dst_sel:DWORD dst_unused:UNUSED_PAD src0_sel:DWORD src1_sel:WORD_1
	v_mul_f16_sdwa v48, v44, v70 dst_sel:DWORD dst_unused:UNUSED_PAD src0_sel:DWORD src1_sel:WORD_1
	v_fma_f16 v12, v85, v15, -v9
	v_fmac_f16_e32 v14, v47, v71
	v_add_f16_e32 v9, v107, v104
	s_waitcnt vmcnt(0)
	v_mul_f16_sdwa v47, v43, v72 dst_sel:DWORD dst_unused:UNUSED_PAD src0_sel:DWORD src1_sel:WORD_1
	v_fmac_f16_e32 v16, v53, v15
	v_fma_f16 v15, v93, v71, -v13
	v_fmac_f16_e32 v45, v44, v70
	v_fma_f16 v13, v92, v70, -v48
	v_mul_f16_sdwa v44, v87, v72 dst_sel:DWORD dst_unused:UNUSED_PAD src0_sel:DWORD src1_sel:WORD_1
	v_sub_f16_e32 v48, v103, v107
	v_sub_f16_e32 v51, v67, v104
	v_fma_f16 v52, -0.5, v9, v38
	v_fma_f16 v9, v87, v72, -v47
	v_add_f16_e32 v47, v103, v67
	ds_read_u16 v54, v34
	ds_read_u16 v70, v34 offset:180
	v_sub_f16_e32 v53, v64, v61
	v_fmac_f16_e32 v44, v43, v72
	v_add_f16_e32 v43, v48, v51
	v_sub_f16_e32 v51, v65, v68
	v_add_f16_e32 v55, v38, v103
	v_fmac_f16_e32 v38, -0.5, v47
	v_fmamk_f16 v48, v53, 0xbb9c, v52
	v_fmac_f16_e32 v52, 0x3b9c, v53
	v_sub_f16_e32 v47, v107, v103
	v_sub_f16_e32 v57, v104, v67
	v_fmamk_f16 v58, v51, 0x3b9c, v38
	v_fmac_f16_e32 v38, 0xbb9c, v51
	v_add_f16_e32 v55, v55, v107
	v_fmac_f16_e32 v48, 0xb8b4, v51
	v_fmac_f16_e32 v52, 0x38b4, v51
	v_add_f16_e32 v47, v47, v57
	v_fmac_f16_e32 v58, 0xb8b4, v53
	;; [unrolled: 3-line block ×3, first 2 shown]
	v_fmac_f16_e32 v52, 0x34f2, v43
	v_fmac_f16_e32 v58, 0x34f2, v47
	v_fmac_f16_e32 v38, 0x34f2, v47
	v_add_f16_e32 v43, v51, v67
	s_waitcnt lgkmcnt(1)
	v_add_f16_e32 v47, v54, v64
	v_add_f16_e32 v51, v65, v68
	v_sub_f16_e32 v53, v103, v67
	v_sub_f16_e32 v55, v64, v65
	;; [unrolled: 1-line block ×3, first 2 shown]
	v_add_f16_e32 v47, v47, v65
	v_fma_f16 v51, -0.5, v51, v54
	v_add_f16_e32 v60, v64, v61
	v_sub_f16_e32 v59, v107, v104
	v_add_f16_e32 v55, v55, v57
	v_add_f16_e32 v47, v47, v68
	v_fmamk_f16 v57, v53, 0x3b9c, v51
	v_fmac_f16_e32 v51, 0xbb9c, v53
	v_fmac_f16_e32 v54, -0.5, v60
	v_sub_f16_e32 v60, v65, v64
	v_add_f16_e32 v47, v47, v61
	v_fmac_f16_e32 v57, 0x38b4, v59
	v_fmac_f16_e32 v51, 0xb8b4, v59
	v_sub_f16_e32 v61, v68, v61
	v_fmamk_f16 v62, v59, 0xbb9c, v54
	v_fmac_f16_e32 v54, 0x3b9c, v59
	v_fmac_f16_e32 v57, 0x34f2, v55
	;; [unrolled: 1-line block ×3, first 2 shown]
	v_add_f16_e32 v55, v108, v109
	v_add_f16_e32 v59, v60, v61
	v_fmac_f16_e32 v62, 0x38b4, v53
	v_sub_f16_e32 v60, v105, v108
	v_sub_f16_e32 v61, v14, v109
	v_fmac_f16_e32 v54, 0xb8b4, v53
	v_add_f16_e32 v53, v105, v14
	v_fma_f16 v55, -0.5, v55, v101
	v_sub_f16_e32 v67, v63, v66
	v_add_f16_e32 v60, v60, v61
	v_add_f16_e32 v61, v101, v105
	v_fmac_f16_e32 v101, -0.5, v53
	v_sub_f16_e32 v64, v106, v15
	v_sub_f16_e32 v53, v108, v105
	;; [unrolled: 1-line block ×3, first 2 shown]
	v_add_f16_e32 v61, v61, v108
	v_fmamk_f16 v71, v67, 0x3b9c, v101
	v_fmac_f16_e32 v101, 0xbb9c, v67
	v_fmac_f16_e32 v62, 0x34f2, v59
	v_add_f16_e32 v53, v53, v68
	v_fmac_f16_e32 v54, 0x34f2, v59
	v_fmac_f16_e32 v71, 0xb8b4, v64
	;; [unrolled: 1-line block ×3, first 2 shown]
	v_add_f16_e32 v59, v61, v109
	v_fmamk_f16 v65, v64, 0xbb9c, v55
	v_fmac_f16_e32 v55, 0x3b9c, v64
	v_fmac_f16_e32 v71, 0x34f2, v53
	;; [unrolled: 1-line block ×3, first 2 shown]
	v_add_f16_e32 v53, v59, v14
	v_add_f16_e32 v59, v63, v66
	v_fmac_f16_e32 v65, 0xb8b4, v67
	v_fmac_f16_e32 v55, 0x38b4, v67
	v_sub_f16_e32 v14, v105, v14
	v_add_f16_e32 v64, v106, v15
	v_fma_f16 v59, -0.5, v59, v102
	v_fmac_f16_e32 v65, 0x34f2, v60
	v_fmac_f16_e32 v55, 0x34f2, v60
	v_sub_f16_e32 v60, v106, v63
	v_sub_f16_e32 v61, v15, v66
	v_add_f16_e32 v67, v102, v106
	v_sub_f16_e32 v68, v108, v109
	v_fmac_f16_e32 v102, -0.5, v64
	v_fmamk_f16 v64, v14, 0x3b9c, v59
	v_add_f16_e32 v60, v60, v61
	v_add_f16_e32 v61, v67, v63
	v_sub_f16_e32 v63, v63, v106
	v_sub_f16_e32 v67, v66, v15
	v_fmamk_f16 v72, v68, 0xbb9c, v102
	v_fmac_f16_e32 v64, 0x38b4, v68
	v_fmac_f16_e32 v102, 0x3b9c, v68
	v_add_f16_e32 v61, v61, v66
	v_fmac_f16_e32 v59, 0xbb9c, v14
	v_add_f16_e32 v63, v63, v67
	v_fmac_f16_e32 v72, 0x38b4, v14
	v_fmac_f16_e32 v64, 0x34f2, v60
	;; [unrolled: 1-line block ×3, first 2 shown]
	v_add_f16_e32 v15, v61, v15
	v_fmac_f16_e32 v59, 0xb8b4, v68
	v_fmac_f16_e32 v72, 0x34f2, v63
	v_mul_f16_e32 v14, 0xb8b4, v64
	v_mul_f16_e32 v61, 0x3a79, v64
	v_fmac_f16_e32 v102, 0x34f2, v63
	v_fmac_f16_e32 v59, 0x34f2, v60
	v_mul_f16_e32 v60, 0xbb9c, v72
	v_fmac_f16_e32 v14, 0x3a79, v65
	v_fmac_f16_e32 v61, 0x38b4, v65
	v_mul_f16_e32 v63, 0x34f2, v72
	v_mul_f16_e32 v65, 0xb4f2, v102
	v_fmac_f16_e32 v60, 0x34f2, v71
	v_mul_f16_e32 v64, 0xbb9c, v102
	v_mul_f16_e32 v66, 0xb8b4, v59
	v_fmac_f16_e32 v63, 0x3b9c, v71
	v_fmac_f16_e32 v65, 0x3b9c, v101
	v_add_f16_e32 v71, v47, v15
	v_sub_f16_e32 v15, v47, v15
	v_add_f16_e32 v47, v69, v89
	v_mul_f16_e32 v59, 0xba79, v59
	v_fmac_f16_e32 v64, 0xb4f2, v101
	v_fmac_f16_e32 v66, 0xba79, v55
	v_add_f16_e32 v72, v57, v61
	v_sub_f16_e32 v74, v57, v61
	v_add_f16_e32 v75, v62, v63
	v_sub_f16_e32 v76, v62, v63
	;; [unrolled: 2-line block ×3, first 2 shown]
	v_sub_f16_e32 v61, v90, v89
	v_sub_f16_e32 v78, v54, v65
	v_add_f16_e32 v54, v83, v90
	v_fma_f16 v47, -0.5, v47, v35
	v_sub_f16_e32 v62, v21, v18
	v_fmac_f16_e32 v59, 0x38b4, v55
	v_add_f16_e32 v55, v43, v53
	v_sub_f16_e32 v43, v43, v53
	v_add_f16_e32 v53, v48, v14
	v_sub_f16_e32 v14, v48, v14
	;; [unrolled: 2-line block ×5, first 2 shown]
	v_add_f16_e32 v57, v57, v61
	v_add_f16_e32 v61, v35, v83
	v_fmac_f16_e32 v35, -0.5, v54
	v_sub_f16_e32 v54, v23, v73
	v_fmamk_f16 v63, v62, 0xbb9c, v47
	v_fmac_f16_e32 v47, 0x3b9c, v62
	v_sub_f16_e32 v65, v69, v83
	v_sub_f16_e32 v66, v89, v90
	v_fmamk_f16 v67, v54, 0x3b9c, v35
	v_fmac_f16_e32 v35, 0xbb9c, v54
	v_fmac_f16_e32 v63, 0xb8b4, v54
	;; [unrolled: 1-line block ×3, first 2 shown]
	v_add_f16_e32 v54, v65, v66
	v_add_f16_e32 v65, v96, v97
	v_fmac_f16_e32 v67, 0xb8b4, v62
	v_fmac_f16_e32 v35, 0x38b4, v62
	v_add_f16_e32 v79, v51, v59
	v_sub_f16_e32 v80, v51, v59
	v_fma_f16 v81, -0.5, v65, v2
	v_sub_f16_e32 v59, v94, v96
	v_sub_f16_e32 v62, v45, v97
	v_add_f16_e32 v65, v94, v45
	v_fmac_f16_e32 v63, 0x34f2, v57
	v_sub_f16_e32 v66, v22, v17
	v_fmac_f16_e32 v47, 0x34f2, v57
	v_add_f16_e32 v57, v59, v62
	v_add_f16_e32 v59, v2, v94
	v_fmac_f16_e32 v2, -0.5, v65
	v_sub_f16_e32 v51, v56, v13
	v_fmac_f16_e32 v67, 0x34f2, v54
	v_fmac_f16_e32 v35, 0x34f2, v54
	v_add_f16_e32 v54, v59, v96
	v_fmamk_f16 v84, v66, 0x3b9c, v2
	v_fmac_f16_e32 v2, 0xbb9c, v66
	v_fmamk_f16 v82, v51, 0xbb9c, v81
	v_fmac_f16_e32 v81, 0x3b9c, v51
	v_add_f16_e32 v54, v54, v97
	v_fmac_f16_e32 v84, 0xb8b4, v51
	v_fmac_f16_e32 v2, 0x38b4, v51
	v_add_f16_e32 v51, v22, v17
	v_fmac_f16_e32 v82, 0xb8b4, v66
	v_fmac_f16_e32 v81, 0x38b4, v66
	v_sub_f16_e32 v59, v96, v94
	v_sub_f16_e32 v62, v97, v45
	v_fma_f16 v85, -0.5, v51, v20
	v_add_f16_e32 v51, v56, v13
	v_add_f16_e32 v54, v54, v45
	v_sub_f16_e32 v45, v94, v45
	v_sub_f16_e32 v65, v96, v97
	v_add_f16_e32 v86, v20, v56
	v_fmac_f16_e32 v20, -0.5, v51
	v_fmac_f16_e32 v82, 0x34f2, v57
	v_fmac_f16_e32 v81, 0x34f2, v57
	v_add_f16_e32 v57, v59, v62
	v_sub_f16_e32 v59, v56, v22
	v_sub_f16_e32 v62, v13, v17
	v_fmamk_f16 v87, v45, 0x3b9c, v85
	v_sub_f16_e32 v51, v22, v56
	v_sub_f16_e32 v56, v17, v13
	v_fmamk_f16 v88, v65, 0xbb9c, v20
	v_fmac_f16_e32 v20, 0x3b9c, v65
	v_add_f16_e32 v59, v59, v62
	v_fmac_f16_e32 v87, 0x38b4, v65
	v_add_f16_e32 v51, v51, v56
	v_fmac_f16_e32 v88, 0x38b4, v45
	v_fmac_f16_e32 v20, 0xb8b4, v45
	v_add_f16_e32 v56, v61, v69
	v_fmac_f16_e32 v87, 0x34f2, v59
	v_fmac_f16_e32 v85, 0xbb9c, v45
	;; [unrolled: 1-line block ×5, first 2 shown]
	v_add_f16_e32 v45, v56, v89
	v_fmac_f16_e32 v2, 0x34f2, v57
	v_mul_f16_e32 v51, 0xb8b4, v87
	v_mul_f16_e32 v56, 0xbb9c, v88
	;; [unrolled: 1-line block ×3, first 2 shown]
	v_fmac_f16_e32 v85, 0xb8b4, v65
	v_add_f16_e32 v45, v45, v90
	v_fmac_f16_e32 v51, 0x3a79, v82
	v_fmac_f16_e32 v56, 0x34f2, v84
	;; [unrolled: 1-line block ×3, first 2 shown]
	v_add_f16_e32 v61, v7, v11
	v_fmac_f16_e32 v85, 0x34f2, v59
	v_add_f16_e32 v59, v45, v54
	v_sub_f16_e32 v45, v45, v54
	v_add_f16_e32 v54, v63, v51
	v_sub_f16_e32 v51, v63, v51
	;; [unrolled: 2-line block ×3, first 2 shown]
	v_add_f16_e32 v63, v35, v57
	v_fma_f16 v61, -0.5, v61, v33
	v_sub_f16_e32 v65, v3, v12
	v_sub_f16_e32 v66, v6, v7
	;; [unrolled: 1-line block ×4, first 2 shown]
	v_add_f16_e32 v35, v6, v16
	v_fmamk_f16 v68, v65, 0xbb9c, v61
	v_sub_f16_e32 v91, v8, v10
	v_add_f16_e32 v66, v66, v67
	v_add_f16_e32 v67, v33, v6
	v_fmac_f16_e32 v33, -0.5, v35
	v_fmac_f16_e32 v61, 0x3b9c, v65
	v_mul_f16_e32 v92, 0xb8b4, v85
	v_fmac_f16_e32 v68, 0xb8b4, v91
	v_sub_f16_e32 v35, v7, v6
	v_sub_f16_e32 v93, v11, v16
	v_fmac_f16_e32 v61, 0x38b4, v91
	v_fmamk_f16 v94, v91, 0x3b9c, v33
	v_fmac_f16_e32 v33, 0xbb9c, v91
	v_fmac_f16_e32 v92, 0xba79, v81
	v_add_f16_e32 v91, v49, v46
	v_add_f16_e32 v35, v35, v93
	v_fmac_f16_e32 v94, 0xb8b4, v65
	v_fmac_f16_e32 v33, 0x38b4, v65
	v_add_f16_e32 v65, v47, v92
	v_sub_f16_e32 v47, v47, v92
	v_fma_f16 v91, -0.5, v91, v0
	v_sub_f16_e32 v92, v50, v9
	v_sub_f16_e32 v93, v19, v49
	;; [unrolled: 1-line block ×3, first 2 shown]
	v_fmac_f16_e32 v68, 0x34f2, v66
	v_fmac_f16_e32 v61, 0x34f2, v66
	v_fmamk_f16 v96, v92, 0xbb9c, v91
	v_sub_f16_e32 v66, v4, v5
	v_fmac_f16_e32 v94, 0x34f2, v35
	v_add_f16_e32 v93, v93, v95
	v_add_f16_e32 v95, v19, v44
	v_fmac_f16_e32 v91, 0x3b9c, v92
	v_fmac_f16_e32 v33, 0x34f2, v35
	v_add_f16_e32 v35, v0, v19
	v_fmac_f16_e32 v96, 0xb8b4, v66
	v_fmac_f16_e32 v0, -0.5, v95
	v_fmac_f16_e32 v91, 0x38b4, v66
	v_sub_f16_e32 v95, v49, v19
	v_add_f16_e32 v35, v35, v49
	v_fmac_f16_e32 v96, 0x34f2, v93
	v_sub_f16_e32 v97, v46, v44
	v_fmamk_f16 v98, v66, 0x3b9c, v0
	v_fmac_f16_e32 v91, 0x34f2, v93
	v_fmac_f16_e32 v0, 0xbb9c, v66
	v_add_f16_e32 v93, v4, v5
	v_add_f16_e32 v35, v35, v46
	;; [unrolled: 1-line block ×3, first 2 shown]
	v_fmac_f16_e32 v98, 0xb8b4, v92
	v_fmac_f16_e32 v0, 0x38b4, v92
	v_sub_f16_e32 v19, v19, v44
	v_sub_f16_e32 v92, v50, v4
	v_fma_f16 v93, -0.5, v93, v1
	v_sub_f16_e32 v95, v9, v5
	v_add_f16_e32 v35, v35, v44
	v_sub_f16_e32 v44, v49, v46
	v_add_f16_e32 v46, v50, v9
	v_fmamk_f16 v97, v19, 0x3b9c, v93
	v_add_f16_e32 v49, v92, v95
	v_add_f16_e32 v92, v1, v50
	v_fmac_f16_e32 v93, 0xbb9c, v19
	v_fmac_f16_e32 v1, -0.5, v46
	v_fmac_f16_e32 v97, 0x38b4, v44
	v_sub_f16_e32 v46, v4, v50
	v_sub_f16_e32 v50, v5, v9
	v_fmac_f16_e32 v93, 0xb8b4, v44
	v_fmamk_f16 v95, v44, 0xbb9c, v1
	v_fmac_f16_e32 v1, 0x3b9c, v44
	v_add_f16_e32 v44, v67, v7
	v_fmac_f16_e32 v97, 0x34f2, v49
	v_add_f16_e32 v46, v46, v50
	v_fmac_f16_e32 v95, 0x38b4, v19
	v_fmac_f16_e32 v1, 0xb8b4, v19
	v_add_f16_e32 v19, v44, v11
	v_mul_f16_e32 v44, 0xb8b4, v97
	v_fmac_f16_e32 v93, 0x34f2, v49
	v_mov_b32_e32 v67, 60
	v_fmac_f16_e32 v95, 0x34f2, v46
	v_add_f16_e32 v19, v19, v16
	v_fmac_f16_e32 v44, 0x3a79, v96
	v_fmac_f16_e32 v1, 0x34f2, v46
	v_mul_u32_u24_sdwa v36, v36, v67 dst_sel:DWORD dst_unused:UNUSED_PAD src0_sel:WORD_0 src1_sel:DWORD
	v_mul_u32_u24_sdwa v39, v39, v67 dst_sel:DWORD dst_unused:UNUSED_PAD src0_sel:WORD_0 src1_sel:DWORD
	v_add_f16_e32 v49, v19, v35
	v_sub_f16_e32 v19, v19, v35
	v_mov_b32_e32 v35, 1
	v_fmac_f16_e32 v98, 0x34f2, v66
	v_fmac_f16_e32 v0, 0x34f2, v66
	v_mul_f16_e32 v46, 0xbb9c, v95
	v_add_f16_e32 v50, v68, v44
	v_lshlrev_b32_sdwa v37, v35, v37 dst_sel:DWORD dst_unused:UNUSED_PAD src0_sel:DWORD src1_sel:BYTE_0
	v_lshlrev_b32_sdwa v40, v35, v40 dst_sel:DWORD dst_unused:UNUSED_PAD src0_sel:DWORD src1_sel:BYTE_0
	v_sub_f16_e32 v44, v68, v44
	v_mul_f16_e32 v66, 0xbb9c, v1
	v_mul_f16_e32 v68, 0xb8b4, v93
	v_add3_u32 v101, 0, v36, v37
	v_add3_u32 v39, 0, v39, v40
	v_fmac_f16_e32 v46, 0x34f2, v98
	v_fmac_f16_e32 v66, 0xb4f2, v0
	;; [unrolled: 1-line block ×3, first 2 shown]
	s_waitcnt lgkmcnt(0)
	s_barrier
	buffer_gl0_inv
	ds_write_b16 v101, v55
	ds_write_b16 v101, v53 offset:6
	ds_write_b16 v101, v48 offset:12
	;; [unrolled: 1-line block ×9, first 2 shown]
	ds_write_b16 v39, v59
	ds_write_b16 v39, v54 offset:6
	v_mul_u32_u24_e32 v14, 60, v41
	v_lshlrev_b32_sdwa v38, v35, v42 dst_sel:DWORD dst_unused:UNUSED_PAD src0_sel:DWORD src1_sel:WORD_0
	v_add_f16_e32 v99, v94, v46
	v_sub_f16_e32 v46, v94, v46
	v_add_f16_e32 v94, v33, v66
	v_sub_f16_e32 v33, v33, v66
	;; [unrolled: 2-line block ×3, first 2 shown]
	v_add3_u32 v14, 0, v14, v38
	ds_write_b16 v39, v62 offset:12
	ds_write_b16 v39, v63 offset:18
	;; [unrolled: 1-line block ×8, first 2 shown]
	ds_write_b16 v14, v49
	ds_write_b16 v14, v50 offset:6
	ds_write_b16 v14, v99 offset:12
	;; [unrolled: 1-line block ×9, first 2 shown]
	s_waitcnt lgkmcnt(0)
	s_barrier
	buffer_gl0_inv
	ds_read_u16 v37, v34
	ds_read_u16 v36, v34 offset:180
	ds_read_u16 v52, v34 offset:2880
	;; [unrolled: 1-line block ×29, first 2 shown]
	s_waitcnt lgkmcnt(0)
	s_barrier
	buffer_gl0_inv
	ds_write_b16 v101, v71
	ds_write_b16 v101, v72 offset:6
	ds_write_b16 v101, v75 offset:12
	;; [unrolled: 1-line block ×7, first 2 shown]
	v_add_f16_e32 v15, v70, v21
	v_sub_f16_e32 v38, v21, v23
	v_sub_f16_e32 v46, v18, v73
	v_add_f16_e32 v48, v23, v73
	v_add_f16_e32 v71, v21, v18
	;; [unrolled: 1-line block ×3, first 2 shown]
	v_sub_f16_e32 v69, v69, v89
	v_add_f16_e32 v38, v38, v46
	v_fma_f16 v46, -0.5, v48, v70
	v_fmac_f16_e32 v70, -0.5, v71
	v_add_f16_e32 v15, v15, v73
	v_sub_f16_e32 v19, v83, v90
	v_sub_f16_e32 v21, v23, v21
	v_add_f16_e32 v22, v86, v22
	v_fmamk_f16 v48, v69, 0xbb9c, v70
	v_add_f16_e32 v15, v15, v18
	v_sub_f16_e32 v18, v73, v18
	v_fmac_f16_e32 v70, 0x3b9c, v69
	v_fmamk_f16 v23, v19, 0x3b9c, v46
	v_fmac_f16_e32 v48, 0x38b4, v19
	v_add_f16_e32 v17, v22, v17
	v_add_f16_e32 v18, v21, v18
	v_fmac_f16_e32 v70, 0xb8b4, v19
	v_fmac_f16_e32 v23, 0x38b4, v69
	;; [unrolled: 1-line block ×3, first 2 shown]
	v_mul_f16_e32 v19, 0x34f2, v88
	v_fmac_f16_e32 v48, 0x34f2, v18
	v_fmac_f16_e32 v70, 0x34f2, v18
	v_mul_f16_e32 v18, 0x3a79, v87
	v_fmac_f16_e32 v23, 0x34f2, v38
	v_mul_f16_e32 v20, 0xb4f2, v20
	v_add_f16_e32 v13, v17, v13
	v_fmac_f16_e32 v19, 0x3b9c, v84
	v_fmac_f16_e32 v18, 0x38b4, v82
	;; [unrolled: 1-line block ×4, first 2 shown]
	v_add_f16_e32 v2, v15, v13
	v_sub_f16_e32 v13, v15, v13
	v_add_f16_e32 v15, v23, v18
	v_sub_f16_e32 v17, v23, v18
	v_add_f16_e32 v23, v100, v3
	v_mul_f16_e32 v21, 0xba79, v85
	v_add_f16_e32 v18, v48, v19
	v_sub_f16_e32 v19, v48, v19
	v_add_f16_e32 v48, v8, v10
	v_add_f16_e32 v23, v23, v8
	;; [unrolled: 1-line block ×3, first 2 shown]
	v_fmac_f16_e32 v46, 0x34f2, v38
	v_fmac_f16_e32 v21, 0x38b4, v81
	v_sub_f16_e32 v7, v7, v11
	v_add_f16_e32 v11, v23, v10
	v_fma_f16 v23, -0.5, v48, v100
	v_fmac_f16_e32 v100, -0.5, v69
	v_add_f16_e32 v38, v46, v21
	v_sub_f16_e32 v21, v46, v21
	v_sub_f16_e32 v6, v6, v16
	;; [unrolled: 1-line block ×5, first 2 shown]
	v_add_f16_e32 v8, v11, v12
	v_sub_f16_e32 v10, v10, v12
	v_fmamk_f16 v12, v7, 0xbb9c, v100
	v_fmac_f16_e32 v100, 0x3b9c, v7
	v_fmamk_f16 v11, v6, 0x3b9c, v23
	v_add_f16_e32 v16, v16, v46
	v_add_f16_e32 v3, v3, v10
	v_fmac_f16_e32 v12, 0x38b4, v6
	v_fmac_f16_e32 v100, 0xb8b4, v6
	;; [unrolled: 1-line block ×4, first 2 shown]
	v_add_f16_e32 v4, v92, v4
	v_fmac_f16_e32 v12, 0x34f2, v3
	v_fmac_f16_e32 v100, 0x34f2, v3
	v_mul_f16_e32 v3, 0x3a79, v97
	v_fmac_f16_e32 v11, 0x34f2, v16
	v_fmac_f16_e32 v23, 0xb8b4, v7
	v_add_f16_e32 v4, v4, v5
	v_mul_f16_e32 v5, 0x34f2, v95
	v_fmac_f16_e32 v3, 0x38b4, v96
	ds_write_b16 v101, v78 offset:48
	ds_write_b16 v101, v80 offset:54
	v_add_f16_e32 v22, v70, v20
	v_mul_f16_e32 v1, 0xb4f2, v1
	ds_write_b16 v39, v2
	ds_write_b16 v39, v15 offset:6
	ds_write_b16 v39, v18 offset:12
	v_add_f16_e32 v7, v11, v3
	v_sub_f16_e32 v3, v11, v3
	v_mul_lo_u16 v11, 0x89, v31
	v_mul_f16_e32 v6, 0xba79, v93
	v_add_f16_e32 v4, v4, v9
	v_fmac_f16_e32 v5, 0x3b9c, v98
	v_fmac_f16_e32 v1, 0x3b9c, v0
	v_lshrrev_b16 v31, 12, v11
	ds_write_b16 v39, v22 offset:18
	ds_write_b16 v39, v38 offset:24
	;; [unrolled: 1-line block ×4, first 2 shown]
	v_sub_f16_e32 v20, v70, v20
	v_fmac_f16_e32 v23, 0x34f2, v16
	v_fmac_f16_e32 v6, 0x38b4, v91
	v_mul_lo_u16 v2, v31, 30
	v_add_f16_e32 v0, v8, v4
	v_sub_f16_e32 v4, v8, v4
	v_add_f16_e32 v8, v12, v5
	v_sub_f16_e32 v5, v12, v5
	v_sub_nc_u16 v38, v24, v2
	v_add_f16_e32 v9, v100, v1
	ds_write_b16 v39, v19 offset:42
	ds_write_b16 v39, v20 offset:48
	;; [unrolled: 1-line block ×3, first 2 shown]
	ds_write_b16 v14, v0
	v_sub_f16_e32 v1, v100, v1
	v_add_f16_e32 v10, v23, v6
	v_mul_u32_u24_sdwa v0, v38, v29 dst_sel:DWORD dst_unused:UNUSED_PAD src0_sel:BYTE_0 src1_sel:DWORD
	ds_write_b16 v14, v7 offset:6
	ds_write_b16 v14, v8 offset:12
	;; [unrolled: 1-line block ×8, first 2 shown]
	v_mul_lo_u16 v4, 0x89, v32
	v_sub_f16_e32 v6, v23, v6
	v_lshlrev_b32_e32 v69, 2, v0
	v_lshlrev_b32_sdwa v38, v35, v38 dst_sel:DWORD dst_unused:UNUSED_PAD src0_sel:DWORD src1_sel:BYTE_0
	v_lshrrev_b16 v32, 12, v4
	ds_write_b16 v14, v6 offset:54
	s_waitcnt lgkmcnt(0)
	s_barrier
	buffer_gl0_inv
	s_clause 0x1
	global_load_dwordx4 v[0:3], v69, s[8:9] offset:108
	global_load_dwordx4 v[4:7], v69, s[8:9] offset:124
	v_mul_lo_u16 v8, v32, 30
	v_sub_nc_u16 v39, v25, v8
	v_mul_u32_u24_sdwa v8, v39, v29 dst_sel:DWORD dst_unused:UNUSED_PAD src0_sel:BYTE_0 src1_sel:DWORD
	v_lshlrev_b32_sdwa v39, v35, v39 dst_sel:DWORD dst_unused:UNUSED_PAD src0_sel:DWORD src1_sel:BYTE_0
	v_lshlrev_b32_e32 v70, 2, v8
	v_mov_b32_e32 v8, 0x8889
	s_clause 0x1
	global_load_dwordx4 v[20:23], v70, s[8:9] offset:108
	global_load_dwordx4 v[16:19], v70, s[8:9] offset:124
	v_mul_u32_u24_sdwa v8, v30, v8 dst_sel:DWORD dst_unused:UNUSED_PAD src0_sel:WORD_0 src1_sel:DWORD
	v_lshrrev_b32_e32 v46, 20, v8
	v_mul_lo_u16 v8, v46, 30
	v_sub_nc_u16 v48, v30, v8
	v_mul_u32_u24_sdwa v8, v48, v29 dst_sel:DWORD dst_unused:UNUSED_PAD src0_sel:WORD_0 src1_sel:DWORD
	v_lshlrev_b32_e32 v71, 2, v8
	s_clause 0x4
	global_load_dwordx4 v[8:11], v71, s[8:9] offset:108
	global_load_dwordx4 v[12:15], v71, s[8:9] offset:124
	global_load_dword v69, v69, s[8:9] offset:140
	global_load_dword v29, v70, s[8:9] offset:140
	;; [unrolled: 1-line block ×3, first 2 shown]
	ds_read_u16 v77, v34 offset:540
	ds_read_u16 v76, v34 offset:1080
	;; [unrolled: 1-line block ×10, first 2 shown]
	s_waitcnt vmcnt(8) lgkmcnt(9)
	v_mul_f16_sdwa v79, v77, v0 dst_sel:DWORD dst_unused:UNUSED_PAD src0_sel:DWORD src1_sel:WORD_1
	v_mul_f16_sdwa v80, v68, v0 dst_sel:DWORD dst_unused:UNUSED_PAD src0_sel:DWORD src1_sel:WORD_1
	;; [unrolled: 1-line block ×3, first 2 shown]
	s_waitcnt lgkmcnt(7)
	v_mul_f16_sdwa v87, v75, v2 dst_sel:DWORD dst_unused:UNUSED_PAD src0_sel:DWORD src1_sel:WORD_1
	v_mul_f16_sdwa v88, v65, v3 dst_sel:DWORD dst_unused:UNUSED_PAD src0_sel:DWORD src1_sel:WORD_1
	v_fmac_f16_e32 v79, v68, v0
	v_fma_f16 v77, v77, v0, -v80
	ds_read_u16 v0, v34 offset:3780
	v_mul_f16_sdwa v68, v76, v1 dst_sel:DWORD dst_unused:UNUSED_PAD src0_sel:DWORD src1_sel:WORD_1
	v_fma_f16 v76, v76, v1, -v83
	s_waitcnt lgkmcnt(7)
	v_mul_f16_sdwa v83, v74, v3 dst_sel:DWORD dst_unused:UNUSED_PAD src0_sel:DWORD src1_sel:WORD_1
	v_fmac_f16_e32 v87, v67, v2
	s_waitcnt vmcnt(7) lgkmcnt(1)
	v_mul_f16_sdwa v94, v82, v5 dst_sel:DWORD dst_unused:UNUSED_PAD src0_sel:DWORD src1_sel:WORD_1
	v_fmac_f16_e32 v68, v66, v1
	v_mul_f16_sdwa v1, v67, v2 dst_sel:DWORD dst_unused:UNUSED_PAD src0_sel:DWORD src1_sel:WORD_1
	ds_read_u16 v66, v34 offset:1800
	ds_read_u16 v80, v34 offset:2340
	;; [unrolled: 1-line block ×6, first 2 shown]
	v_fmac_f16_e32 v83, v65, v3
	v_fma_f16 v65, v74, v3, -v88
	v_fma_f16 v67, v75, v2, -v1
	v_mul_f16_sdwa v88, v81, v4 dst_sel:DWORD dst_unused:UNUSED_PAD src0_sel:DWORD src1_sel:WORD_1
	v_mul_f16_sdwa v1, v62, v4 dst_sel:DWORD dst_unused:UNUSED_PAD src0_sel:DWORD src1_sel:WORD_1
	ds_read_u16 v3, v34 offset:3420
	ds_read_u16 v75, v34 offset:2880
	;; [unrolled: 1-line block ×6, first 2 shown]
	v_mul_f16_sdwa v2, v64, v5 dst_sel:DWORD dst_unused:UNUSED_PAD src0_sel:DWORD src1_sel:WORD_1
	v_fmac_f16_e32 v94, v64, v5
	v_fmac_f16_e32 v88, v62, v4
	v_fma_f16 v81, v81, v4, -v1
	s_waitcnt lgkmcnt(12)
	v_mul_f16_sdwa v62, v0, v6 dst_sel:DWORD dst_unused:UNUSED_PAD src0_sel:DWORD src1_sel:WORD_1
	v_mul_f16_sdwa v1, v63, v6 dst_sel:DWORD dst_unused:UNUSED_PAD src0_sel:DWORD src1_sel:WORD_1
	v_fma_f16 v64, v82, v5, -v2
	ds_read_u16 v4, v34 offset:4500
	ds_read_u16 v82, v34 offset:4680
	;; [unrolled: 1-line block ×5, first 2 shown]
	s_waitcnt vmcnt(6)
	v_mul_f16_sdwa v2, v73, v20 dst_sel:DWORD dst_unused:UNUSED_PAD src0_sel:DWORD src1_sel:WORD_1
	v_fmac_f16_e32 v62, v63, v6
	v_fma_f16 v63, v0, v6, -v1
	v_mul_f16_sdwa v0, v59, v20 dst_sel:DWORD dst_unused:UNUSED_PAD src0_sel:DWORD src1_sel:WORD_1
	v_mul_f16_sdwa v1, v55, v21 dst_sel:DWORD dst_unused:UNUSED_PAD src0_sel:DWORD src1_sel:WORD_1
	;; [unrolled: 1-line block ×3, first 2 shown]
	v_fmac_f16_e32 v2, v59, v20
	s_waitcnt lgkmcnt(16)
	v_mul_f16_sdwa v59, v66, v22 dst_sel:DWORD dst_unused:UNUSED_PAD src0_sel:DWORD src1_sel:WORD_1
	v_fma_f16 v6, v73, v20, -v0
	v_mul_f16_sdwa v0, v61, v22 dst_sel:DWORD dst_unused:UNUSED_PAD src0_sel:DWORD src1_sel:WORD_1
	v_fma_f16 v20, v72, v21, -v1
	v_mul_f16_sdwa v1, v57, v23 dst_sel:DWORD dst_unused:UNUSED_PAD src0_sel:DWORD src1_sel:WORD_1
	s_waitcnt lgkmcnt(11)
	v_mul_f16_sdwa v98, v89, v7 dst_sel:DWORD dst_unused:UNUSED_PAD src0_sel:DWORD src1_sel:WORD_1
	v_mul_f16_sdwa v5, v58, v7 dst_sel:DWORD dst_unused:UNUSED_PAD src0_sel:DWORD src1_sel:WORD_1
	v_fmac_f16_e32 v74, v55, v21
	v_mul_f16_sdwa v72, v80, v23 dst_sel:DWORD dst_unused:UNUSED_PAD src0_sel:DWORD src1_sel:WORD_1
	v_fmac_f16_e32 v59, v61, v22
	v_fma_f16 v55, v66, v22, -v0
	s_waitcnt vmcnt(5) lgkmcnt(9)
	v_mul_f16_sdwa v61, v75, v16 dst_sel:DWORD dst_unused:UNUSED_PAD src0_sel:DWORD src1_sel:WORD_1
	v_mul_f16_sdwa v0, v52, v16 dst_sel:DWORD dst_unused:UNUSED_PAD src0_sel:DWORD src1_sel:WORD_1
	v_fma_f16 v22, v80, v23, -v1
	v_mul_f16_sdwa v1, v60, v17 dst_sel:DWORD dst_unused:UNUSED_PAD src0_sel:DWORD src1_sel:WORD_1
	v_fmac_f16_e32 v98, v58, v7
	v_fma_f16 v58, v89, v7, -v5
	v_fmac_f16_e32 v72, v57, v23
	v_mul_f16_sdwa v73, v3, v17 dst_sel:DWORD dst_unused:UNUSED_PAD src0_sel:DWORD src1_sel:WORD_1
	v_fmac_f16_e32 v61, v52, v16
	v_fma_f16 v21, v75, v16, -v0
	s_waitcnt lgkmcnt(8)
	v_mul_f16_sdwa v52, v90, v18 dst_sel:DWORD dst_unused:UNUSED_PAD src0_sel:DWORD src1_sel:WORD_1
	v_mul_f16_sdwa v5, v56, v18 dst_sel:DWORD dst_unused:UNUSED_PAD src0_sel:DWORD src1_sel:WORD_1
	v_fma_f16 v23, v3, v17, -v1
	s_waitcnt lgkmcnt(4)
	v_mul_f16_sdwa v75, v4, v19 dst_sel:DWORD dst_unused:UNUSED_PAD src0_sel:DWORD src1_sel:WORD_1
	v_mul_f16_sdwa v1, v47, v19 dst_sel:DWORD dst_unused:UNUSED_PAD src0_sel:DWORD src1_sel:WORD_1
	v_fmac_f16_e32 v73, v60, v17
	s_waitcnt vmcnt(4)
	v_mul_f16_sdwa v0, v71, v8 dst_sel:DWORD dst_unused:UNUSED_PAD src0_sel:DWORD src1_sel:WORD_1
	v_fmac_f16_e32 v52, v56, v18
	v_fma_f16 v17, v90, v18, -v5
	v_fmac_f16_e32 v75, v47, v19
	v_fma_f16 v18, v4, v19, -v1
	v_mul_f16_sdwa v1, v49, v8 dst_sel:DWORD dst_unused:UNUSED_PAD src0_sel:DWORD src1_sel:WORD_1
	v_mul_f16_sdwa v7, v86, v9 dst_sel:DWORD dst_unused:UNUSED_PAD src0_sel:DWORD src1_sel:WORD_1
	;; [unrolled: 1-line block ×6, first 2 shown]
	s_waitcnt vmcnt(3)
	v_mul_f16_sdwa v47, v93, v12 dst_sel:DWORD dst_unused:UNUSED_PAD src0_sel:DWORD src1_sel:WORD_1
	v_mul_f16_sdwa v16, v54, v12 dst_sel:DWORD dst_unused:UNUSED_PAD src0_sel:DWORD src1_sel:WORD_1
	v_fmac_f16_e32 v0, v49, v8
	v_fma_f16 v1, v71, v8, -v1
	v_fmac_f16_e32 v7, v53, v9
	v_fma_f16 v3, v86, v9, -v3
	v_fmac_f16_e32 v19, v51, v10
	v_mul_f16_sdwa v8, v84, v11 dst_sel:DWORD dst_unused:UNUSED_PAD src0_sel:DWORD src1_sel:WORD_1
	v_fma_f16 v49, v85, v10, -v4
	v_fma_f16 v9, v84, v11, -v5
	v_fmac_f16_e32 v47, v54, v12
	v_fma_f16 v4, v93, v12, -v16
	v_mul_f16_sdwa v12, v92, v13 dst_sel:DWORD dst_unused:UNUSED_PAD src0_sel:DWORD src1_sel:WORD_1
	v_mul_f16_sdwa v5, v45, v13 dst_sel:DWORD dst_unused:UNUSED_PAD src0_sel:DWORD src1_sel:WORD_1
	;; [unrolled: 1-line block ×3, first 2 shown]
	v_fmac_f16_e32 v8, v43, v11
	v_mul_f16_sdwa v43, v91, v14 dst_sel:DWORD dst_unused:UNUSED_PAD src0_sel:DWORD src1_sel:WORD_1
	s_waitcnt lgkmcnt(3)
	v_mul_f16_sdwa v16, v82, v15 dst_sel:DWORD dst_unused:UNUSED_PAD src0_sel:DWORD src1_sel:WORD_1
	v_fmac_f16_e32 v12, v45, v13
	v_fma_f16 v11, v92, v13, -v5
	v_fma_f16 v5, v91, v14, -v10
	v_mul_f16_sdwa v10, v50, v15 dst_sel:DWORD dst_unused:UNUSED_PAD src0_sel:DWORD src1_sel:WORD_1
	s_waitcnt vmcnt(1) lgkmcnt(1)
	v_mul_f16_sdwa v45, v96, v29 dst_sel:DWORD dst_unused:UNUSED_PAD src0_sel:DWORD src1_sel:WORD_1
	v_fmac_f16_e32 v43, v42, v14
	v_fmac_f16_e32 v16, v50, v15
	s_waitcnt lgkmcnt(0)
	v_mul_f16_sdwa v42, v97, v69 dst_sel:DWORD dst_unused:UNUSED_PAD src0_sel:DWORD src1_sel:WORD_1
	v_mul_f16_sdwa v14, v44, v69 dst_sel:DWORD dst_unused:UNUSED_PAD src0_sel:DWORD src1_sel:WORD_1
	;; [unrolled: 1-line block ×3, first 2 shown]
	v_fma_f16 v13, v82, v15, -v10
	v_fmac_f16_e32 v45, v41, v29
	v_add_f16_e32 v10, v83, v94
	s_waitcnt vmcnt(0)
	v_mul_f16_sdwa v41, v40, v70 dst_sel:DWORD dst_unused:UNUSED_PAD src0_sel:DWORD src1_sel:WORD_1
	v_fmac_f16_e32 v42, v44, v69
	v_fma_f16 v15, v97, v69, -v14
	v_fma_f16 v14, v96, v29, -v50
	v_mul_f16_sdwa v29, v95, v70 dst_sel:DWORD dst_unused:UNUSED_PAD src0_sel:DWORD src1_sel:WORD_1
	v_sub_f16_e32 v44, v68, v83
	v_sub_f16_e32 v50, v98, v94
	v_fma_f16 v51, -0.5, v10, v37
	v_fma_f16 v10, v95, v70, -v41
	v_add_f16_e32 v41, v68, v98
	ds_read_u16 v54, v34
	ds_read_u16 v69, v34 offset:180
	v_sub_f16_e32 v53, v76, v58
	v_fmac_f16_e32 v29, v40, v70
	v_add_f16_e32 v40, v44, v50
	v_sub_f16_e32 v50, v65, v64
	v_add_f16_e32 v56, v37, v68
	v_fmac_f16_e32 v37, -0.5, v41
	v_fmamk_f16 v44, v53, 0xbb9c, v51
	v_fmac_f16_e32 v51, 0x3b9c, v53
	v_sub_f16_e32 v41, v83, v68
	v_sub_f16_e32 v57, v94, v98
	v_fmamk_f16 v60, v50, 0x3b9c, v37
	v_fmac_f16_e32 v37, 0xbb9c, v50
	v_add_f16_e32 v56, v56, v83
	v_fmac_f16_e32 v44, 0xb8b4, v50
	v_fmac_f16_e32 v51, 0x38b4, v50
	v_add_f16_e32 v41, v41, v57
	v_fmac_f16_e32 v60, 0xb8b4, v53
	;; [unrolled: 3-line block ×3, first 2 shown]
	v_fmac_f16_e32 v51, 0x34f2, v40
	v_fmac_f16_e32 v60, 0x34f2, v41
	;; [unrolled: 1-line block ×3, first 2 shown]
	v_add_f16_e32 v40, v50, v98
	s_waitcnt lgkmcnt(1)
	v_add_f16_e32 v41, v54, v76
	v_add_f16_e32 v50, v65, v64
	v_sub_f16_e32 v53, v68, v98
	v_sub_f16_e32 v56, v76, v65
	;; [unrolled: 1-line block ×3, first 2 shown]
	v_add_f16_e32 v41, v41, v65
	v_fma_f16 v50, -0.5, v50, v54
	v_add_f16_e32 v68, v76, v58
	v_sub_f16_e32 v66, v83, v94
	v_add_f16_e32 v56, v56, v57
	v_add_f16_e32 v41, v41, v64
	v_fmamk_f16 v57, v53, 0x3b9c, v50
	v_fmac_f16_e32 v50, 0xbb9c, v53
	v_fmac_f16_e32 v54, -0.5, v68
	v_sub_f16_e32 v65, v65, v76
	v_add_f16_e32 v41, v41, v58
	v_fmac_f16_e32 v57, 0x38b4, v66
	v_fmac_f16_e32 v50, 0xb8b4, v66
	v_sub_f16_e32 v58, v64, v58
	v_fmamk_f16 v64, v66, 0xbb9c, v54
	v_fmac_f16_e32 v54, 0x3b9c, v66
	v_fmac_f16_e32 v57, 0x34f2, v56
	;; [unrolled: 1-line block ×3, first 2 shown]
	v_add_f16_e32 v56, v88, v62
	v_add_f16_e32 v58, v65, v58
	v_fmac_f16_e32 v64, 0x38b4, v53
	v_sub_f16_e32 v65, v87, v88
	v_sub_f16_e32 v66, v42, v62
	v_fmac_f16_e32 v54, 0xb8b4, v53
	v_add_f16_e32 v53, v87, v42
	v_fma_f16 v56, -0.5, v56, v79
	v_sub_f16_e32 v71, v81, v63
	v_add_f16_e32 v65, v65, v66
	v_add_f16_e32 v66, v79, v87
	v_fmac_f16_e32 v79, -0.5, v53
	v_sub_f16_e32 v68, v67, v15
	v_sub_f16_e32 v53, v88, v87
	v_sub_f16_e32 v76, v62, v42
	v_add_f16_e32 v66, v66, v88
	v_fmamk_f16 v80, v71, 0x3b9c, v79
	v_fmac_f16_e32 v79, 0xbb9c, v71
	v_fmamk_f16 v70, v68, 0xbb9c, v56
	v_fmac_f16_e32 v56, 0x3b9c, v68
	v_add_f16_e32 v53, v53, v76
	v_fmac_f16_e32 v80, 0xb8b4, v68
	v_fmac_f16_e32 v79, 0x38b4, v68
	;; [unrolled: 1-line block ×4, first 2 shown]
	v_add_f16_e32 v58, v66, v62
	v_fmac_f16_e32 v70, 0xb8b4, v71
	v_fmac_f16_e32 v56, 0x38b4, v71
	;; [unrolled: 1-line block ×4, first 2 shown]
	v_add_f16_e32 v53, v58, v42
	v_add_f16_e32 v58, v81, v63
	;; [unrolled: 1-line block ×3, first 2 shown]
	v_fmac_f16_e32 v70, 0x34f2, v65
	v_fmac_f16_e32 v56, 0x34f2, v65
	v_sub_f16_e32 v42, v87, v42
	v_sub_f16_e32 v65, v67, v81
	;; [unrolled: 1-line block ×3, first 2 shown]
	v_add_f16_e32 v71, v77, v67
	v_fma_f16 v58, -0.5, v58, v77
	v_sub_f16_e32 v62, v88, v62
	v_fmac_f16_e32 v77, -0.5, v68
	v_add_f16_e32 v65, v65, v66
	v_add_f16_e32 v66, v71, v81
	v_fmamk_f16 v68, v42, 0x3b9c, v58
	v_sub_f16_e32 v67, v81, v67
	v_sub_f16_e32 v71, v63, v15
	v_fmamk_f16 v76, v62, 0xbb9c, v77
	v_fmac_f16_e32 v77, 0x3b9c, v62
	v_add_f16_e32 v63, v66, v63
	v_fmac_f16_e32 v68, 0x38b4, v62
	v_add_f16_e32 v66, v67, v71
	v_fmac_f16_e32 v58, 0xbb9c, v42
	v_fmac_f16_e32 v77, 0xb8b4, v42
	;; [unrolled: 1-line block ×4, first 2 shown]
	v_add_f16_e32 v15, v63, v15
	v_fmac_f16_e32 v58, 0xb8b4, v62
	v_fmac_f16_e32 v77, 0x34f2, v66
	;; [unrolled: 1-line block ×3, first 2 shown]
	v_mul_f16_e32 v62, 0x3a79, v68
	v_mul_f16_e32 v42, 0xb8b4, v68
	v_fmac_f16_e32 v58, 0x34f2, v65
	v_mul_f16_e32 v67, 0xb4f2, v77
	v_mul_f16_e32 v63, 0xbb9c, v76
	v_fmac_f16_e32 v62, 0x38b4, v70
	v_mul_f16_e32 v65, 0x34f2, v76
	v_fmac_f16_e32 v42, 0x3a79, v70
	v_fmac_f16_e32 v67, 0x3b9c, v79
	;; [unrolled: 1-line block ×3, first 2 shown]
	v_add_f16_e32 v70, v41, v15
	v_fmac_f16_e32 v65, 0x3b9c, v80
	v_sub_f16_e32 v15, v41, v15
	v_add_f16_e32 v71, v57, v62
	v_sub_f16_e32 v76, v57, v62
	v_add_f16_e32 v41, v72, v73
	v_add_f16_e32 v80, v54, v67
	v_sub_f16_e32 v57, v74, v72
	v_sub_f16_e32 v62, v75, v73
	;; [unrolled: 1-line block ×3, first 2 shown]
	v_add_f16_e32 v54, v74, v75
	v_mul_f16_e32 v66, 0xbb9c, v77
	v_mul_f16_e32 v68, 0xb8b4, v58
	;; [unrolled: 1-line block ×3, first 2 shown]
	v_fma_f16 v41, -0.5, v41, v36
	v_add_f16_e32 v57, v57, v62
	v_add_f16_e32 v62, v36, v74
	v_sub_f16_e32 v67, v22, v23
	v_fmac_f16_e32 v36, -0.5, v54
	v_fmac_f16_e32 v66, 0xb4f2, v79
	v_fmac_f16_e32 v68, 0xba79, v56
	v_fmac_f16_e32 v58, 0x38b4, v56
	v_add_f16_e32 v77, v64, v65
	v_sub_f16_e32 v79, v64, v65
	v_sub_f16_e32 v64, v20, v18
	v_fmamk_f16 v82, v67, 0x3b9c, v36
	v_fmac_f16_e32 v36, 0xbb9c, v67
	v_add_f16_e32 v56, v40, v53
	v_sub_f16_e32 v40, v40, v53
	v_add_f16_e32 v53, v44, v42
	v_sub_f16_e32 v42, v44, v42
	;; [unrolled: 2-line block ×5, first 2 shown]
	v_fmamk_f16 v65, v64, 0xbb9c, v41
	v_fmac_f16_e32 v41, 0x3b9c, v64
	v_sub_f16_e32 v54, v72, v74
	v_sub_f16_e32 v68, v73, v75
	v_fmac_f16_e32 v82, 0xb8b4, v64
	v_fmac_f16_e32 v36, 0x38b4, v64
	v_add_f16_e32 v83, v50, v58
	v_sub_f16_e32 v84, v50, v58
	v_sub_f16_e32 v58, v59, v61
	;; [unrolled: 1-line block ×3, first 2 shown]
	v_fmac_f16_e32 v65, 0xb8b4, v67
	v_fmac_f16_e32 v41, 0x38b4, v67
	v_add_f16_e32 v54, v54, v68
	v_add_f16_e32 v67, v61, v52
	;; [unrolled: 1-line block ×4, first 2 shown]
	v_sub_f16_e32 v50, v55, v14
	v_fmac_f16_e32 v65, 0x34f2, v57
	v_fma_f16 v85, -0.5, v67, v2
	v_fmac_f16_e32 v41, 0x34f2, v57
	v_sub_f16_e32 v57, v21, v17
	v_fmac_f16_e32 v82, 0x34f2, v54
	v_fmac_f16_e32 v36, 0x34f2, v54
	v_add_f16_e32 v54, v2, v59
	v_fmac_f16_e32 v2, -0.5, v64
	v_fmamk_f16 v86, v50, 0xbb9c, v85
	v_fmac_f16_e32 v85, 0x3b9c, v50
	v_sub_f16_e32 v67, v52, v45
	v_add_f16_e32 v54, v54, v61
	v_fmamk_f16 v87, v57, 0x3b9c, v2
	v_fmac_f16_e32 v2, 0xbb9c, v57
	v_fmac_f16_e32 v86, 0xb8b4, v57
	;; [unrolled: 1-line block ×3, first 2 shown]
	v_add_f16_e32 v90, v6, v55
	v_fmac_f16_e32 v87, 0xb8b4, v50
	v_fmac_f16_e32 v2, 0x38b4, v50
	v_add_f16_e32 v50, v54, v52
	v_fmac_f16_e32 v86, 0x34f2, v58
	v_fmac_f16_e32 v85, 0x34f2, v58
	v_add_f16_e32 v58, v21, v17
	v_sub_f16_e32 v54, v59, v45
	v_add_f16_e32 v45, v50, v45
	v_add_f16_e32 v50, v55, v14
	v_sub_f16_e32 v52, v61, v52
	v_fma_f16 v88, -0.5, v58, v6
	v_sub_f16_e32 v64, v61, v59
	v_sub_f16_e32 v59, v55, v21
	v_fmac_f16_e32 v6, -0.5, v50
	v_sub_f16_e32 v58, v14, v17
	v_fmamk_f16 v89, v54, 0x3b9c, v88
	v_sub_f16_e32 v50, v21, v55
	v_sub_f16_e32 v55, v17, v14
	v_fmamk_f16 v91, v52, 0xbb9c, v6
	v_fmac_f16_e32 v6, 0x3b9c, v52
	v_add_f16_e32 v58, v59, v58
	v_fmac_f16_e32 v88, 0xbb9c, v54
	v_fmac_f16_e32 v89, 0x38b4, v52
	v_add_f16_e32 v50, v50, v55
	v_fmac_f16_e32 v6, 0xb8b4, v54
	v_add_f16_e32 v57, v64, v67
	;; [unrolled: 2-line block ×3, first 2 shown]
	v_fmac_f16_e32 v91, 0x38b4, v54
	v_fmac_f16_e32 v89, 0x34f2, v58
	;; [unrolled: 1-line block ×4, first 2 shown]
	v_add_f16_e32 v52, v52, v73
	v_fmac_f16_e32 v91, 0x34f2, v50
	v_fmac_f16_e32 v2, 0x34f2, v57
	v_mul_f16_e32 v54, 0xb8b4, v89
	v_mul_f16_e32 v57, 0xbb9c, v6
	v_add_f16_e32 v52, v52, v75
	v_mul_f16_e32 v50, 0xbb9c, v91
	v_fmac_f16_e32 v88, 0x34f2, v58
	v_fmac_f16_e32 v54, 0x3a79, v86
	v_add_f16_e32 v58, v8, v12
	v_fmac_f16_e32 v57, 0xb4f2, v2
	v_add_f16_e32 v55, v52, v45
	v_fmac_f16_e32 v50, 0x34f2, v87
	v_sub_f16_e32 v45, v52, v45
	v_add_f16_e32 v52, v65, v54
	v_sub_f16_e32 v54, v65, v54
	v_sub_f16_e32 v61, v7, v8
	;; [unrolled: 1-line block ×3, first 2 shown]
	v_fma_f16 v58, -0.5, v58, v33
	v_sub_f16_e32 v64, v3, v13
	v_add_f16_e32 v65, v36, v57
	v_sub_f16_e32 v36, v36, v57
	v_add_f16_e32 v57, v7, v16
	v_add_f16_e32 v59, v82, v50
	v_sub_f16_e32 v50, v82, v50
	v_fmamk_f16 v67, v64, 0xbb9c, v58
	v_sub_f16_e32 v68, v9, v11
	v_add_f16_e32 v61, v61, v62
	v_add_f16_e32 v62, v33, v7
	v_fmac_f16_e32 v33, -0.5, v57
	v_fmac_f16_e32 v58, 0x3b9c, v64
	v_sub_f16_e32 v57, v8, v7
	v_mul_f16_e32 v82, 0xb8b4, v88
	v_sub_f16_e32 v92, v12, v16
	v_fmac_f16_e32 v67, 0xb8b4, v68
	v_fmac_f16_e32 v58, 0x38b4, v68
	v_fmamk_f16 v93, v68, 0x3b9c, v33
	v_fmac_f16_e32 v33, 0xbb9c, v68
	v_fmac_f16_e32 v82, 0xba79, v85
	v_add_f16_e32 v57, v57, v92
	v_add_f16_e32 v68, v47, v43
	v_sub_f16_e32 v92, v19, v47
	v_sub_f16_e32 v94, v29, v43
	v_fmac_f16_e32 v93, 0xb8b4, v64
	v_fmac_f16_e32 v33, 0x38b4, v64
	v_add_f16_e32 v64, v41, v82
	v_sub_f16_e32 v41, v41, v82
	v_fma_f16 v82, -0.5, v68, v0
	v_sub_f16_e32 v68, v49, v10
	v_add_f16_e32 v92, v92, v94
	v_add_f16_e32 v94, v19, v29
	v_fmac_f16_e32 v67, 0x34f2, v61
	v_fmac_f16_e32 v58, 0x34f2, v61
	v_fmamk_f16 v95, v68, 0xbb9c, v82
	v_sub_f16_e32 v61, v4, v5
	v_fmac_f16_e32 v93, 0x34f2, v57
	v_fmac_f16_e32 v82, 0x3b9c, v68
	v_fmac_f16_e32 v33, 0x34f2, v57
	v_add_f16_e32 v57, v0, v19
	v_fmac_f16_e32 v0, -0.5, v94
	v_fmac_f16_e32 v95, 0xb8b4, v61
	v_fmac_f16_e32 v82, 0x38b4, v61
	v_sub_f16_e32 v94, v47, v19
	v_sub_f16_e32 v96, v43, v29
	v_fmamk_f16 v97, v61, 0x3b9c, v0
	v_fmac_f16_e32 v0, 0xbb9c, v61
	v_add_f16_e32 v57, v57, v47
	v_fmac_f16_e32 v95, 0x34f2, v92
	v_fmac_f16_e32 v82, 0x34f2, v92
	v_add_f16_e32 v61, v94, v96
	v_fmac_f16_e32 v97, 0xb8b4, v68
	v_add_f16_e32 v92, v4, v5
	;; [unrolled: 2-line block ×3, first 2 shown]
	v_sub_f16_e32 v68, v49, v4
	v_sub_f16_e32 v94, v10, v5
	;; [unrolled: 1-line block ×3, first 2 shown]
	v_add_f16_e32 v47, v49, v10
	v_sub_f16_e32 v19, v19, v29
	v_fma_f16 v92, -0.5, v92, v1
	v_add_f16_e32 v29, v57, v29
	v_add_f16_e32 v57, v68, v94
	;; [unrolled: 1-line block ×3, first 2 shown]
	v_fmac_f16_e32 v1, -0.5, v47
	v_fmamk_f16 v96, v19, 0x3b9c, v92
	v_fmac_f16_e32 v92, 0xbb9c, v19
	v_sub_f16_e32 v47, v4, v49
	v_sub_f16_e32 v49, v5, v10
	v_fmamk_f16 v98, v43, 0xbb9c, v1
	v_fmac_f16_e32 v1, 0x3b9c, v43
	v_fmac_f16_e32 v96, 0x38b4, v43
	;; [unrolled: 1-line block ×3, first 2 shown]
	v_add_f16_e32 v47, v47, v49
	v_fmac_f16_e32 v98, 0x38b4, v19
	v_fmac_f16_e32 v1, 0xb8b4, v19
	;; [unrolled: 1-line block ×4, first 2 shown]
	v_mov_b32_e32 v61, 0x258
	v_add_f16_e32 v43, v62, v8
	v_fmac_f16_e32 v96, 0x34f2, v57
	v_fmac_f16_e32 v98, 0x34f2, v47
	v_fmac_f16_e32 v92, 0x34f2, v57
	v_fmac_f16_e32 v1, 0x34f2, v47
	v_mul_u32_u24_sdwa v31, v31, v61 dst_sel:DWORD dst_unused:UNUSED_PAD src0_sel:WORD_0 src1_sel:DWORD
	v_mul_u32_u24_sdwa v32, v32, v61 dst_sel:DWORD dst_unused:UNUSED_PAD src0_sel:WORD_0 src1_sel:DWORD
	v_add_f16_e32 v19, v43, v12
	v_mul_f16_e32 v43, 0xb8b4, v96
	v_mul_f16_e32 v49, 0xbb9c, v98
	;; [unrolled: 1-line block ×4, first 2 shown]
	v_add3_u32 v31, 0, v31, v38
	v_add3_u32 v32, 0, v32, v39
	v_add_f16_e32 v19, v19, v16
	v_fmac_f16_e32 v43, 0x3a79, v95
	v_fmac_f16_e32 v49, 0x34f2, v97
	;; [unrolled: 1-line block ×4, first 2 shown]
	s_waitcnt lgkmcnt(0)
	s_barrier
	buffer_gl0_inv
	ds_write_b16 v31, v56
	ds_write_b16 v31, v53 offset:60
	ds_write_b16 v31, v44 offset:120
	;; [unrolled: 1-line block ×9, first 2 shown]
	ds_write_b16 v32, v55
	ds_write_b16 v32, v52 offset:60
	v_mul_u32_u24_e32 v37, 0x258, v46
	v_lshlrev_b32_sdwa v39, v35, v48 dst_sel:DWORD dst_unused:UNUSED_PAD src0_sel:DWORD src1_sel:WORD_0
	v_add_f16_e32 v47, v19, v29
	v_sub_f16_e32 v19, v19, v29
	v_add_f16_e32 v29, v67, v43
	v_sub_f16_e32 v43, v67, v43
	;; [unrolled: 2-line block ×4, first 2 shown]
	v_sub_f16_e32 v57, v58, v62
	v_add3_u32 v37, 0, v37, v39
	v_add_f16_e32 v38, v58, v62
	ds_write_b16 v32, v59 offset:120
	ds_write_b16 v32, v65 offset:180
	;; [unrolled: 1-line block ×8, first 2 shown]
	ds_write_b16 v37, v47
	ds_write_b16 v37, v29 offset:60
	ds_write_b16 v37, v67 offset:120
	;; [unrolled: 1-line block ×9, first 2 shown]
	s_waitcnt lgkmcnt(0)
	s_barrier
	buffer_gl0_inv
	ds_read_u16 v60, v34 offset:3960
	ds_read_u16 v58, v34 offset:4140
	ds_read_u16 v63, v34 offset:2160
	ds_read_u16 v61, v34 offset:2340
	ds_read_u16 v55, v34 offset:2520
	ds_read_u16 v53, v34 offset:2700
	ds_read_u16 v48, v34
	ds_read_u16 v47, v34 offset:180
	ds_read_u16 v46, v34 offset:360
	;; [unrolled: 1-line block ×23, first 2 shown]
	s_waitcnt lgkmcnt(0)
	s_barrier
	buffer_gl0_inv
	ds_write_b16 v31, v70
	ds_write_b16 v31, v71 offset:60
	ds_write_b16 v31, v77 offset:120
	;; [unrolled: 1-line block ×7, first 2 shown]
	v_add_f16_e32 v15, v69, v20
	ds_write_b16 v31, v81 offset:480
	ds_write_b16 v31, v84 offset:540
	v_sub_f16_e32 v29, v20, v22
	v_sub_f16_e32 v31, v18, v23
	v_add_f16_e32 v33, v22, v23
	v_add_f16_e32 v15, v15, v22
	;; [unrolled: 1-line block ×3, first 2 shown]
	v_sub_f16_e32 v38, v72, v73
	v_add_f16_e32 v29, v29, v31
	v_fma_f16 v31, -0.5, v33, v69
	v_add_f16_e32 v15, v15, v23
	v_fmac_f16_e32 v69, -0.5, v36
	v_sub_f16_e32 v19, v74, v75
	v_sub_f16_e32 v20, v22, v20
	v_add_f16_e32 v21, v90, v21
	v_add_f16_e32 v15, v15, v18
	v_sub_f16_e32 v18, v23, v18
	v_fmamk_f16 v23, v38, 0xbb9c, v69
	v_fmac_f16_e32 v69, 0x3b9c, v38
	v_fmamk_f16 v22, v19, 0x3b9c, v31
	v_fmac_f16_e32 v31, 0xbb9c, v19
	v_add_f16_e32 v18, v20, v18
	v_fmac_f16_e32 v23, 0x38b4, v19
	v_fmac_f16_e32 v69, 0xb8b4, v19
	;; [unrolled: 1-line block ×3, first 2 shown]
	v_add_f16_e32 v17, v21, v17
	v_fmac_f16_e32 v31, 0xb8b4, v38
	v_fmac_f16_e32 v23, 0x34f2, v18
	v_fmac_f16_e32 v69, 0x34f2, v18
	v_mul_f16_e32 v18, 0x3a79, v89
	v_fmac_f16_e32 v22, 0x34f2, v29
	v_mul_f16_e32 v19, 0x34f2, v91
	v_mul_f16_e32 v6, 0xb4f2, v6
	;; [unrolled: 1-line block ×3, first 2 shown]
	v_add_f16_e32 v14, v17, v14
	v_fmac_f16_e32 v18, 0x38b4, v86
	v_fmac_f16_e32 v31, 0x34f2, v29
	;; [unrolled: 1-line block ×5, first 2 shown]
	v_add_f16_e32 v2, v15, v14
	v_sub_f16_e32 v14, v15, v14
	v_add_f16_e32 v15, v22, v18
	v_sub_f16_e32 v17, v22, v18
	v_add_f16_e32 v22, v78, v3
	v_add_f16_e32 v18, v23, v19
	v_sub_f16_e32 v19, v23, v19
	v_add_f16_e32 v23, v31, v20
	v_sub_f16_e32 v20, v31, v20
	v_add_f16_e32 v22, v22, v9
	v_add_f16_e32 v31, v9, v11
	;; [unrolled: 1-line block ×3, first 2 shown]
	v_sub_f16_e32 v8, v8, v12
	v_sub_f16_e32 v7, v7, v16
	v_add_f16_e32 v12, v22, v11
	v_fma_f16 v22, -0.5, v31, v78
	v_fmac_f16_e32 v78, -0.5, v33
	v_sub_f16_e32 v16, v3, v9
	v_sub_f16_e32 v29, v13, v11
	;; [unrolled: 1-line block ×3, first 2 shown]
	v_add_f16_e32 v9, v12, v13
	v_sub_f16_e32 v11, v11, v13
	v_fmamk_f16 v13, v8, 0xbb9c, v78
	v_fmac_f16_e32 v78, 0x3b9c, v8
	v_fmamk_f16 v12, v7, 0x3b9c, v22
	v_add_f16_e32 v4, v94, v4
	v_add_f16_e32 v3, v3, v11
	v_fmac_f16_e32 v13, 0x38b4, v7
	v_fmac_f16_e32 v78, 0xb8b4, v7
	;; [unrolled: 1-line block ×3, first 2 shown]
	v_add_f16_e32 v16, v16, v29
	v_fmac_f16_e32 v12, 0x38b4, v8
	v_fmac_f16_e32 v13, 0x34f2, v3
	;; [unrolled: 1-line block ×3, first 2 shown]
	v_mul_f16_e32 v3, 0x3a79, v96
	v_add_f16_e32 v4, v4, v5
	v_mul_f16_e32 v5, 0x34f2, v98
	v_mul_f16_e32 v1, 0xb4f2, v1
	v_fmac_f16_e32 v22, 0xb8b4, v8
	v_mul_f16_e32 v7, 0xba79, v92
	v_fmac_f16_e32 v12, 0x34f2, v16
	v_fmac_f16_e32 v3, 0x38b4, v95
	v_add_f16_e32 v4, v4, v10
	v_fmac_f16_e32 v5, 0x3b9c, v97
	v_fmac_f16_e32 v1, 0x3b9c, v0
	;; [unrolled: 1-line block ×4, first 2 shown]
	v_add_f16_e32 v8, v12, v3
	v_mov_b32_e32 v29, 0
	v_add_f16_e32 v0, v9, v4
	v_sub_f16_e32 v4, v9, v4
	v_add_f16_e32 v9, v13, v5
	v_add_f16_e32 v10, v78, v1
	v_add_f16_e32 v21, v69, v6
	v_sub_f16_e32 v11, v78, v1
	v_add_f16_e32 v1, v22, v7
	v_sub_f16_e32 v6, v69, v6
	ds_write_b16 v32, v2
	ds_write_b16 v32, v15 offset:60
	ds_write_b16 v32, v18 offset:120
	;; [unrolled: 1-line block ×9, first 2 shown]
	ds_write_b16 v37, v0
	ds_write_b16 v37, v8 offset:60
	ds_write_b16 v37, v9 offset:120
	;; [unrolled: 1-line block ×4, first 2 shown]
	v_lshlrev_b64 v[0:1], 2, v[28:29]
	v_sub_f16_e32 v3, v12, v3
	v_sub_f16_e32 v5, v13, v5
	ds_write_b16 v37, v4 offset:300
	ds_write_b16 v37, v3 offset:360
	;; [unrolled: 1-line block ×4, first 2 shown]
	v_add_co_u32 v0, s0, s8, v0
	v_add_co_ci_u32_e64 v1, s0, s9, v1, s0
	v_lshlrev_b32_e32 v2, 1, v25
	v_mov_b32_e32 v3, v29
	v_add_nc_u32_e32 v25, 0x10e, v24
	v_subrev_nc_u32_e32 v6, 30, v24
	v_cmp_gt_u32_e64 s0, 30, v24
	v_sub_f16_e32 v7, v22, v7
	v_lshlrev_b64 v[2:3], 2, v[2:3]
	v_lshlrev_b32_e32 v4, 1, v30
	v_mov_b32_e32 v5, v29
	v_cndmask_b32_e64 v6, v6, v25, s0
	ds_write_b16 v37, v7 offset:540
	s_waitcnt lgkmcnt(0)
	s_barrier
	buffer_gl0_inv
	global_load_dwordx2 v[8:9], v[0:1], off offset:1188
	v_lshlrev_b64 v[10:11], 2, v[4:5]
	v_lshlrev_b32_e32 v6, 1, v6
	v_mov_b32_e32 v7, v29
	v_add_co_u32 v4, s0, s8, v2
	v_add_co_ci_u32_e64 v5, s0, s9, v3, s0
	v_add_nc_u32_e32 v37, 0x21c, v24
	v_lshlrev_b64 v[14:15], 2, v[6:7]
	v_add_nc_u32_e32 v38, 0x276, v24
	v_add_co_u32 v2, s0, s8, v10
	v_add_nc_u32_e32 v16, 0x78, v28
	v_mov_b32_e32 v17, v29
	v_add_co_ci_u32_e64 v3, s0, s9, v11, s0
	global_load_dwordx2 v[10:11], v[4:5], off offset:1188
	v_mov_b32_e32 v22, 0x6d3b
	v_lshrrev_b16 v7, 2, v37
	v_add_nc_u32_e32 v28, 0x12c, v28
	v_lshrrev_b16 v18, 2, v38
	v_add_co_u32 v14, s0, s8, v14
	v_lshlrev_b64 v[16:17], 2, v[16:17]
	global_load_dwordx2 v[12:13], v[2:3], off offset:1188
	v_add_co_ci_u32_e64 v15, s0, s9, v15, s0
	v_mul_u32_u24_sdwa v7, v7, v22 dst_sel:DWORD dst_unused:UNUSED_PAD src0_sel:WORD_0 src1_sel:DWORD
	v_add_nc_u32_e32 v36, 0x2d0, v24
	v_mul_u32_u24_sdwa v20, v18, v22 dst_sel:DWORD dst_unused:UNUSED_PAD src0_sel:WORD_0 src1_sel:DWORD
	global_load_dwordx2 v[14:15], v[14:15], off offset:1188
	v_lshlrev_b64 v[18:19], 2, v[28:29]
	v_add_co_u32 v16, s0, s8, v16
	v_lshrrev_b32_e32 v69, 21, v7
	v_lshrrev_b16 v23, 2, v36
	v_add_co_ci_u32_e64 v17, s0, s9, v17, s0
	v_add_co_u32 v18, s0, s8, v18
	v_lshrrev_b32_e32 v20, 21, v20
	v_mul_lo_u16 v21, 0x12c, v69
	v_add_co_ci_u32_e64 v19, s0, s9, v19, s0
	v_add_nc_u32_e32 v7, 0x32a, v24
	v_mul_u32_u24_sdwa v23, v23, v22 dst_sel:DWORD dst_unused:UNUSED_PAD src0_sel:WORD_0 src1_sel:DWORD
	global_load_dwordx2 v[16:17], v[16:17], off offset:1188
	v_mul_lo_u16 v28, 0x12c, v20
	v_sub_nc_u16 v72, v37, v21
	global_load_dwordx2 v[20:21], v[18:19], off offset:1188
	v_lshrrev_b16 v31, 2, v7
	v_lshrrev_b32_e32 v18, 21, v23
	v_sub_nc_u16 v19, v38, v28
	v_mov_b32_e32 v30, 3
	v_cmp_lt_u32_e64 s0, 29, v24
	v_mul_u32_u24_sdwa v22, v31, v22 dst_sel:DWORD dst_unused:UNUSED_PAD src0_sel:WORD_0 src1_sel:DWORD
	v_mul_lo_u16 v18, 0x12c, v18
	v_and_b32_e32 v70, 0xffff, v19
	v_lshlrev_b32_sdwa v23, v30, v72 dst_sel:DWORD dst_unused:UNUSED_PAD src0_sel:DWORD src1_sel:WORD_0
	v_lshrrev_b32_e32 v19, 21, v22
	v_sub_nc_u16 v18, v36, v18
	v_lshlrev_b32_e32 v22, 3, v70
	global_load_dwordx2 v[32:33], v23, s[8:9] offset:1188
	v_mul_lo_u16 v19, 0x12c, v19
	v_and_b32_e32 v71, 0xffff, v18
	v_sub_nc_u16 v18, v7, v19
	v_lshlrev_b32_e32 v19, 3, v71
	v_and_b32_e32 v28, 0xffff, v18
	s_clause 0x1
	global_load_dwordx2 v[30:31], v19, s[8:9] offset:1188
	global_load_dwordx2 v[22:23], v22, s[8:9] offset:1188
	v_lshlrev_b32_e32 v18, 3, v28
	v_lshl_add_u32 v28, v28, 1, 0
	global_load_dwordx2 v[18:19], v18, s[8:9] offset:1188
	ds_read_u16 v73, v34 offset:1800
	ds_read_u16 v74, v34 offset:3600
	;; [unrolled: 1-line block ×12, first 2 shown]
	s_waitcnt vmcnt(9) lgkmcnt(11)
	v_mul_f16_sdwa v82, v73, v8 dst_sel:DWORD dst_unused:UNUSED_PAD src0_sel:DWORD src1_sel:WORD_1
	v_mul_f16_sdwa v83, v67, v8 dst_sel:DWORD dst_unused:UNUSED_PAD src0_sel:DWORD src1_sel:WORD_1
	s_waitcnt lgkmcnt(10)
	v_mul_f16_sdwa v87, v74, v9 dst_sel:DWORD dst_unused:UNUSED_PAD src0_sel:DWORD src1_sel:WORD_1
	v_fmac_f16_e32 v82, v67, v8
	v_mul_f16_sdwa v67, v68, v9 dst_sel:DWORD dst_unused:UNUSED_PAD src0_sel:DWORD src1_sel:WORD_1
	v_fmac_f16_e32 v87, v68, v9
	v_fma_f16 v8, v73, v8, -v83
	v_fma_f16 v9, v74, v9, -v67
	s_waitcnt vmcnt(8) lgkmcnt(9)
	v_mul_f16_sdwa v68, v75, v10 dst_sel:DWORD dst_unused:UNUSED_PAD src0_sel:DWORD src1_sel:WORD_1
	s_waitcnt lgkmcnt(8)
	v_mul_f16_sdwa v67, v76, v11 dst_sel:DWORD dst_unused:UNUSED_PAD src0_sel:DWORD src1_sel:WORD_1
	v_mul_f16_sdwa v74, v66, v11 dst_sel:DWORD dst_unused:UNUSED_PAD src0_sel:DWORD src1_sel:WORD_1
	;; [unrolled: 1-line block ×3, first 2 shown]
	v_fmac_f16_e32 v68, v65, v10
	v_fmac_f16_e32 v67, v66, v11
	v_fma_f16 v11, v76, v11, -v74
	s_waitcnt vmcnt(7) lgkmcnt(7)
	v_mul_f16_sdwa v65, v77, v12 dst_sel:DWORD dst_unused:UNUSED_PAD src0_sel:DWORD src1_sel:WORD_1
	v_mul_f16_sdwa v66, v63, v12 dst_sel:DWORD dst_unused:UNUSED_PAD src0_sel:DWORD src1_sel:WORD_1
	ds_read_u16 v74, v34 offset:4320
	v_fma_f16 v10, v75, v10, -v73
	s_waitcnt lgkmcnt(3)
	v_mul_f16_sdwa v73, v84, v13 dst_sel:DWORD dst_unused:UNUSED_PAD src0_sel:DWORD src1_sel:WORD_1
	v_fmac_f16_e32 v65, v63, v12
	v_fma_f16 v12, v77, v12, -v66
	s_waitcnt vmcnt(6)
	v_mul_f16_sdwa v66, v78, v14 dst_sel:DWORD dst_unused:UNUSED_PAD src0_sel:DWORD src1_sel:WORD_1
	v_mul_f16_sdwa v63, v60, v13 dst_sel:DWORD dst_unused:UNUSED_PAD src0_sel:DWORD src1_sel:WORD_1
	;; [unrolled: 1-line block ×3, first 2 shown]
	v_fmac_f16_e32 v73, v60, v13
	s_waitcnt lgkmcnt(2)
	v_mul_f16_sdwa v60, v85, v15 dst_sel:DWORD dst_unused:UNUSED_PAD src0_sel:DWORD src1_sel:WORD_1
	v_fmac_f16_e32 v66, v61, v14
	ds_read_u16 v61, v34 offset:4500
	v_fma_f16 v13, v84, v13, -v63
	v_mul_f16_sdwa v63, v58, v15 dst_sel:DWORD dst_unused:UNUSED_PAD src0_sel:DWORD src1_sel:WORD_1
	ds_read_u16 v76, v34 offset:2880
	v_fma_f16 v14, v78, v14, -v75
	v_fmac_f16_e32 v60, v58, v15
	v_fma_f16 v15, v85, v15, -v63
	ds_read_u16 v63, v34 offset:4680
	ds_read_u16 v77, v34 offset:4860
	ds_read_u16 v78, v34 offset:5040
	ds_read_u16 v83, v34 offset:5220
	ds_read_u16 v88, v34 offset:3060
	s_waitcnt vmcnt(5) lgkmcnt(7)
	v_mul_f16_sdwa v84, v74, v17 dst_sel:DWORD dst_unused:UNUSED_PAD src0_sel:DWORD src1_sel:WORD_1
	v_mul_f16_sdwa v85, v64, v17 dst_sel:DWORD dst_unused:UNUSED_PAD src0_sel:DWORD src1_sel:WORD_1
	v_mul_f16_sdwa v58, v79, v16 dst_sel:DWORD dst_unused:UNUSED_PAD src0_sel:DWORD src1_sel:WORD_1
	v_mul_f16_sdwa v75, v55, v16 dst_sel:DWORD dst_unused:UNUSED_PAD src0_sel:DWORD src1_sel:WORD_1
	v_fmac_f16_e32 v84, v64, v17
	v_fma_f16 v64, v74, v17, -v85
	ds_read_u16 v17, v34 offset:3240
	v_fmac_f16_e32 v58, v55, v16
	v_fma_f16 v55, v79, v16, -v75
	s_waitcnt vmcnt(4)
	v_mul_f16_sdwa v75, v80, v20 dst_sel:DWORD dst_unused:UNUSED_PAD src0_sel:DWORD src1_sel:WORD_1
	v_mul_f16_sdwa v16, v53, v20 dst_sel:DWORD dst_unused:UNUSED_PAD src0_sel:DWORD src1_sel:WORD_1
	s_waitcnt lgkmcnt(7)
	v_mul_f16_sdwa v74, v61, v21 dst_sel:DWORD dst_unused:UNUSED_PAD src0_sel:DWORD src1_sel:WORD_1
	ds_read_u16 v85, v34
	v_fmac_f16_e32 v75, v53, v20
	v_mul_f16_sdwa v53, v62, v21 dst_sel:DWORD dst_unused:UNUSED_PAD src0_sel:DWORD src1_sel:WORD_1
	v_fma_f16 v79, v80, v20, -v16
	v_fmac_f16_e32 v74, v62, v21
	s_waitcnt vmcnt(3) lgkmcnt(7)
	v_mul_f16_sdwa v62, v76, v32 dst_sel:DWORD dst_unused:UNUSED_PAD src0_sel:DWORD src1_sel:WORD_1
	v_mul_f16_sdwa v16, v56, v32 dst_sel:DWORD dst_unused:UNUSED_PAD src0_sel:DWORD src1_sel:WORD_1
	v_fma_f16 v53, v61, v21, -v53
	s_waitcnt lgkmcnt(6)
	v_mul_f16_sdwa v61, v63, v33 dst_sel:DWORD dst_unused:UNUSED_PAD src0_sel:DWORD src1_sel:WORD_1
	v_mul_f16_sdwa v20, v59, v33 dst_sel:DWORD dst_unused:UNUSED_PAD src0_sel:DWORD src1_sel:WORD_1
	v_fmac_f16_e32 v62, v56, v32
	v_fma_f16 v56, v76, v32, -v16
	v_fmac_f16_e32 v61, v59, v33
	v_fma_f16 v59, v63, v33, -v20
	s_waitcnt vmcnt(2) lgkmcnt(4)
	v_mul_f16_sdwa v63, v78, v31 dst_sel:DWORD dst_unused:UNUSED_PAD src0_sel:DWORD src1_sel:WORD_1
	s_waitcnt vmcnt(1) lgkmcnt(2)
	v_mul_f16_sdwa v76, v88, v22 dst_sel:DWORD dst_unused:UNUSED_PAD src0_sel:DWORD src1_sel:WORD_1
	v_mul_f16_sdwa v16, v52, v22 dst_sel:DWORD dst_unused:UNUSED_PAD src0_sel:DWORD src1_sel:WORD_1
	;; [unrolled: 1-line block ×5, first 2 shown]
	v_fmac_f16_e32 v76, v52, v22
	v_fma_f16 v52, v88, v22, -v16
	v_mul_f16_sdwa v16, v57, v23 dst_sel:DWORD dst_unused:UNUSED_PAD src0_sel:DWORD src1_sel:WORD_1
	v_fmac_f16_e32 v80, v57, v23
	s_waitcnt lgkmcnt(1)
	v_mul_f16_sdwa v57, v17, v30 dst_sel:DWORD dst_unused:UNUSED_PAD src0_sel:DWORD src1_sel:WORD_1
	v_fmac_f16_e32 v63, v54, v31
	v_fma_f16 v54, v78, v31, -v21
	v_fma_f16 v77, v77, v23, -v16
	s_waitcnt vmcnt(0)
	v_mul_f16_sdwa v78, v86, v18 dst_sel:DWORD dst_unused:UNUSED_PAD src0_sel:DWORD src1_sel:WORD_1
	v_mul_f16_sdwa v16, v49, v18 dst_sel:DWORD dst_unused:UNUSED_PAD src0_sel:DWORD src1_sel:WORD_1
	v_fmac_f16_e32 v57, v50, v30
	v_fma_f16 v50, v17, v30, -v20
	v_mul_f16_sdwa v88, v83, v19 dst_sel:DWORD dst_unused:UNUSED_PAD src0_sel:DWORD src1_sel:WORD_1
	v_mul_f16_sdwa v17, v51, v19 dst_sel:DWORD dst_unused:UNUSED_PAD src0_sel:DWORD src1_sel:WORD_1
	v_cndmask_b32_e64 v20, 0, 0x708, s0
	v_fmac_f16_e32 v78, v49, v18
	v_fma_f16 v49, v86, v18, -v16
	v_add_f16_e32 v16, v82, v87
	v_fmac_f16_e32 v88, v51, v19
	v_fma_f16 v51, v83, v19, -v17
	v_add3_u32 v83, 0, v20, v6
	v_lshlrev_b32_sdwa v6, v35, v72 dst_sel:DWORD dst_unused:UNUSED_PAD src0_sel:DWORD src1_sel:WORD_0
	ds_read_u16 v72, v34 offset:180
	ds_read_u16 v86, v34 offset:360
	;; [unrolled: 1-line block ×7, first 2 shown]
	v_add_f16_e32 v17, v48, v82
	v_fmac_f16_e32 v48, -0.5, v16
	v_add_f16_e32 v16, v8, v9
	v_sub_f16_e32 v18, v8, v9
	s_waitcnt lgkmcnt(7)
	v_add_f16_e32 v8, v85, v8
	v_add_f16_e32 v22, v42, v62
	;; [unrolled: 1-line block ×3, first 2 shown]
	v_fmac_f16_e32 v85, -0.5, v16
	v_add_f16_e32 v16, v17, v87
	v_sub_f16_e32 v17, v82, v87
	v_add_f16_e32 v82, v8, v9
	v_add_f16_e32 v8, v68, v67
	;; [unrolled: 1-line block ×3, first 2 shown]
	v_fmamk_f16 v19, v18, 0xbaee, v48
	v_fmamk_f16 v87, v17, 0x3aee, v85
	v_fmac_f16_e32 v85, 0xbaee, v17
	v_add_f16_e32 v17, v47, v68
	v_fmac_f16_e32 v47, -0.5, v8
	v_sub_f16_e32 v8, v10, v11
	s_waitcnt lgkmcnt(6)
	v_add_f16_e32 v10, v72, v10
	v_fmac_f16_e32 v48, 0x3aee, v18
	v_fmac_f16_e32 v72, -0.5, v9
	v_add_f16_e32 v9, v17, v67
	v_sub_f16_e32 v17, v68, v67
	v_fmamk_f16 v18, v8, 0xbaee, v47
	v_fmac_f16_e32 v47, 0x3aee, v8
	v_add_f16_e32 v67, v10, v11
	v_add_f16_e32 v8, v65, v73
	;; [unrolled: 1-line block ×4, first 2 shown]
	v_fmamk_f16 v68, v17, 0x3aee, v72
	v_fmac_f16_e32 v72, 0xbaee, v17
	v_fmac_f16_e32 v46, -0.5, v8
	v_sub_f16_e32 v8, v12, v13
	s_waitcnt lgkmcnt(5)
	v_add_f16_e32 v12, v86, v12
	v_fmac_f16_e32 v86, -0.5, v10
	v_add_f16_e32 v10, v11, v73
	v_sub_f16_e32 v11, v65, v73
	v_fmamk_f16 v17, v8, 0xbaee, v46
	v_fmac_f16_e32 v46, 0x3aee, v8
	v_add_f16_e32 v65, v12, v13
	v_add_f16_e32 v8, v66, v60
	v_fmamk_f16 v73, v11, 0x3aee, v86
	v_fmac_f16_e32 v86, 0xbaee, v11
	v_add_f16_e32 v11, v14, v15
	v_add_f16_e32 v12, v45, v66
	v_fmac_f16_e32 v45, -0.5, v8
	s_waitcnt lgkmcnt(4)
	v_add_f16_e32 v8, v89, v14
	v_sub_f16_e32 v13, v14, v15
	v_fmac_f16_e32 v89, -0.5, v11
	v_add_f16_e32 v11, v12, v60
	v_add_f16_e32 v12, v58, v84
	v_sub_f16_e32 v14, v66, v60
	v_fmamk_f16 v20, v13, 0xbaee, v45
	v_fmac_f16_e32 v45, 0x3aee, v13
	v_add_f16_e32 v13, v44, v58
	v_fmac_f16_e32 v44, -0.5, v12
	v_sub_f16_e32 v12, v55, v64
	v_add_f16_e32 v60, v8, v15
	v_add_f16_e32 v8, v75, v74
	;; [unrolled: 1-line block ×3, first 2 shown]
	v_fmamk_f16 v66, v14, 0x3aee, v89
	v_fmac_f16_e32 v89, 0xbaee, v14
	v_fmamk_f16 v14, v12, 0xbaee, v44
	v_fmac_f16_e32 v44, 0x3aee, v12
	v_add_f16_e32 v12, v43, v75
	v_fmac_f16_e32 v43, -0.5, v8
	v_sub_f16_e32 v8, v79, v53
	v_fmac_f16_e32 v42, -0.5, v15
	v_sub_f16_e32 v15, v56, v59
	ds_read_u16 v94, v34 offset:1440
	s_waitcnt lgkmcnt(0)
	v_fmamk_f16 v30, v8, 0xbaee, v43
	v_fmac_f16_e32 v43, 0x3aee, v8
	v_add_f16_e32 v8, v57, v63
	s_barrier
	buffer_gl0_inv
	ds_write_b16 v34, v16
	ds_write_b16 v34, v19 offset:600
	ds_write_b16 v34, v48 offset:1200
	;; [unrolled: 1-line block ×8, first 2 shown]
	ds_write_b16 v83, v11
	v_mul_u32_u24_e32 v11, 0x708, v69
	v_fmamk_f16 v31, v15, 0xbaee, v42
	v_fmac_f16_e32 v42, 0x3aee, v15
	v_add_f16_e32 v15, v78, v88
	v_add_f16_e32 v23, v39, v76
	v_fmac_f16_e32 v39, -0.5, v21
	v_sub_f16_e32 v21, v52, v77
	v_add_f16_e32 v9, v13, v84
	v_add_f16_e32 v32, v40, v57
	v_fmac_f16_e32 v40, -0.5, v8
	v_sub_f16_e32 v8, v50, v54
	v_add3_u32 v47, 0, v11, v6
	v_add_f16_e32 v6, v22, v61
	v_add_f16_e32 v10, v12, v74
	;; [unrolled: 1-line block ×3, first 2 shown]
	v_fmac_f16_e32 v41, -0.5, v15
	v_sub_f16_e32 v15, v49, v51
	v_fmamk_f16 v35, v21, 0xbaee, v39
	v_fmac_f16_e32 v39, 0x3aee, v21
	ds_write_b16 v83, v20 offset:600
	ds_write_b16 v83, v45 offset:1200
	;; [unrolled: 1-line block ×6, first 2 shown]
	v_add_f16_e32 v9, v23, v80
	v_lshl_add_u32 v48, v70, 1, 0
	ds_write_b16 v34, v30 offset:2700
	ds_write_b16 v34, v43 offset:3300
	ds_write_b16 v47, v6
	ds_write_b16 v47, v31 offset:600
	ds_write_b16 v47, v42 offset:1200
	;; [unrolled: 1-line block ×3, first 2 shown]
	v_add_f16_e32 v6, v32, v63
	v_lshl_add_u32 v69, v71, 1, 0
	v_fmamk_f16 v21, v8, 0xbaee, v40
	v_fmac_f16_e32 v40, 0x3aee, v8
	v_fmamk_f16 v8, v15, 0xbaee, v41
	v_fmac_f16_e32 v41, 0x3aee, v15
	v_add_f16_e32 v9, v33, v88
	ds_write_b16 v48, v35 offset:4200
	ds_write_b16 v48, v39 offset:4800
	;; [unrolled: 1-line block ×8, first 2 shown]
	s_waitcnt lgkmcnt(0)
	s_barrier
	buffer_gl0_inv
	ds_read_u16 v9, v34 offset:3960
	ds_read_u16 v11, v34 offset:4140
	;; [unrolled: 1-line block ×6, first 2 shown]
	ds_read_u16 v39, v34
	ds_read_u16 v40, v34 offset:180
	ds_read_u16 v6, v34 offset:360
	;; [unrolled: 1-line block ×23, first 2 shown]
	s_waitcnt lgkmcnt(0)
	s_barrier
	buffer_gl0_inv
	ds_write_b16 v34, v82
	ds_write_b16 v34, v87 offset:600
	ds_write_b16 v34, v85 offset:1200
	;; [unrolled: 1-line block ×8, first 2 shown]
	ds_write_b16 v83, v60
	v_add_f16_e32 v60, v55, v64
	v_add_f16_e32 v65, v79, v53
	;; [unrolled: 1-line block ×3, first 2 shown]
	v_sub_f16_e32 v58, v58, v84
	v_sub_f16_e32 v57, v57, v63
	v_fmac_f16_e32 v90, -0.5, v60
	v_add_f16_e32 v60, v91, v79
	v_fmac_f16_e32 v91, -0.5, v65
	v_sub_f16_e32 v65, v75, v74
	v_add_f16_e32 v55, v55, v64
	v_fmamk_f16 v64, v58, 0x3aee, v90
	v_fmac_f16_e32 v90, 0xbaee, v58
	v_add_f16_e32 v53, v60, v53
	v_add_f16_e32 v58, v56, v59
	v_fmamk_f16 v60, v65, 0x3aee, v91
	v_fmac_f16_e32 v91, 0xbaee, v65
	v_add_f16_e32 v65, v52, v77
	v_add_f16_e32 v56, v92, v56
	v_fmac_f16_e32 v92, -0.5, v58
	v_sub_f16_e32 v58, v62, v61
	v_add_f16_e32 v52, v93, v52
	v_fmac_f16_e32 v93, -0.5, v65
	v_sub_f16_e32 v61, v76, v80
	v_add_f16_e32 v56, v56, v59
	v_fmamk_f16 v59, v58, 0x3aee, v92
	v_fmac_f16_e32 v92, 0xbaee, v58
	v_add_f16_e32 v58, v50, v54
	v_fmamk_f16 v62, v61, 0x3aee, v93
	v_fmac_f16_e32 v93, 0xbaee, v61
	v_add_f16_e32 v61, v49, v51
	v_add_f16_e32 v50, v94, v50
	v_fmac_f16_e32 v94, -0.5, v58
	v_add_f16_e32 v49, v81, v49
	v_sub_f16_e32 v58, v78, v88
	v_fmac_f16_e32 v81, -0.5, v61
	ds_write_b16 v83, v66 offset:600
	ds_write_b16 v83, v89 offset:1200
	v_add_f16_e32 v52, v52, v77
	v_add_f16_e32 v50, v50, v54
	v_fmamk_f16 v54, v57, 0x3aee, v94
	v_fmac_f16_e32 v94, 0xbaee, v57
	v_add_f16_e32 v49, v49, v51
	v_fmamk_f16 v51, v58, 0x3aee, v81
	v_fmac_f16_e32 v81, 0xbaee, v58
	ds_write_b16 v34, v55 offset:1920
	ds_write_b16 v34, v64 offset:2520
	;; [unrolled: 1-line block ×6, first 2 shown]
	ds_write_b16 v47, v56
	ds_write_b16 v47, v59 offset:600
	ds_write_b16 v47, v92 offset:1200
	;; [unrolled: 1-line block ×11, first 2 shown]
	s_waitcnt lgkmcnt(0)
	s_barrier
	buffer_gl0_inv
	s_and_saveexec_b32 s0, vcc_lo
	s_cbranch_execz .LBB0_13
; %bb.12:
	v_lshlrev_b32_e32 v28, 1, v7
	v_add_co_u32 v4, vcc_lo, 0x800, v4
	v_add_co_ci_u32_e32 v5, vcc_lo, 0, v5, vcc_lo
	v_lshlrev_b64 v[47:48], 2, v[28:29]
	v_add_co_u32 v0, vcc_lo, 0x800, v0
	v_lshlrev_b32_e32 v28, 1, v36
	v_add_co_ci_u32_e32 v1, vcc_lo, 0, v1, vcc_lo
	v_add_co_u32 v47, vcc_lo, s8, v47
	v_add_co_ci_u32_e32 v48, vcc_lo, s9, v48, vcc_lo
	v_lshlrev_b64 v[49:50], 2, v[28:29]
	v_add_co_u32 v47, vcc_lo, 0x800, v47
	v_add_co_ci_u32_e32 v48, vcc_lo, 0, v48, vcc_lo
	s_clause 0x1
	global_load_dwordx2 v[4:5], v[4:5], off offset:1540
	global_load_dwordx2 v[0:1], v[0:1], off offset:1540
	v_add_co_u32 v28, vcc_lo, s8, v49
	v_add_co_ci_u32_e32 v50, vcc_lo, s9, v50, vcc_lo
	global_load_dwordx2 v[47:48], v[47:48], off offset:1540
	v_add_co_u32 v49, vcc_lo, 0x800, v28
	v_lshlrev_b32_e32 v28, 1, v38
	v_add_co_ci_u32_e32 v50, vcc_lo, 0, v50, vcc_lo
	v_add_nc_u32_e32 v59, 0x1c2, v24
	v_lshlrev_b64 v[51:52], 2, v[28:29]
	global_load_dwordx2 v[49:50], v[49:50], off offset:1540
	v_add_co_u32 v28, vcc_lo, s8, v51
	v_add_co_ci_u32_e32 v38, vcc_lo, s9, v52, vcc_lo
	v_add_co_u32 v51, vcc_lo, 0x800, v28
	v_add_co_ci_u32_e32 v52, vcc_lo, 0, v38, vcc_lo
	v_lshlrev_b32_e32 v28, 1, v37
	global_load_dwordx2 v[37:38], v[51:52], off offset:1540
	v_lshlrev_b64 v[51:52], 2, v[28:29]
	v_add_co_u32 v28, vcc_lo, s8, v51
	v_add_co_ci_u32_e32 v52, vcc_lo, s9, v52, vcc_lo
	v_add_co_u32 v51, vcc_lo, 0x800, v28
	v_lshlrev_b32_e32 v28, 1, v59
	v_add_co_ci_u32_e32 v52, vcc_lo, 0, v52, vcc_lo
	v_lshlrev_b64 v[53:54], 2, v[28:29]
	global_load_dwordx2 v[51:52], v[51:52], off offset:1540
	v_add_co_u32 v28, vcc_lo, s8, v53
	v_add_co_ci_u32_e32 v54, vcc_lo, s9, v54, vcc_lo
	v_add_co_u32 v53, vcc_lo, 0x800, v28
	v_lshl_add_u32 v28, v24, 1, 0x2d0
	v_add_co_ci_u32_e32 v54, vcc_lo, 0, v54, vcc_lo
	v_lshlrev_b64 v[55:56], 2, v[28:29]
	global_load_dwordx2 v[53:54], v[53:54], off offset:1540
	v_add_co_u32 v28, vcc_lo, s8, v55
	v_add_co_ci_u32_e32 v56, vcc_lo, s9, v56, vcc_lo
	v_add_co_u32 v55, vcc_lo, 0x800, v28
	v_lshlrev_b32_e32 v28, 1, v25
	v_add_co_ci_u32_e32 v56, vcc_lo, 0, v56, vcc_lo
	v_lshlrev_b64 v[57:58], 2, v[28:29]
	global_load_dwordx2 v[55:56], v[55:56], off offset:1540
	v_add_co_u32 v25, vcc_lo, s8, v57
	v_add_co_ci_u32_e32 v28, vcc_lo, s9, v58, vcc_lo
	v_add_co_u32 v57, vcc_lo, 0x800, v25
	v_add_co_ci_u32_e32 v58, vcc_lo, 0, v28, vcc_lo
	;; [unrolled: 2-line block ×3, first 2 shown]
	s_clause 0x1
	global_load_dwordx2 v[57:58], v[57:58], off offset:1540
	global_load_dwordx2 v[2:3], v[2:3], off offset:1540
	v_add_co_u32 v89, vcc_lo, s2, v26
	v_mul_hi_u32 v26, 0x91a2b3c5, v59
	ds_read_u16 v67, v34 offset:2700
	ds_read_u16 v68, v34 offset:2520
	;; [unrolled: 1-line block ×29, first 2 shown]
	ds_read_u16 v34, v34
	v_mov_b32_e32 v25, v29
	v_add_co_ci_u32_e32 v90, vcc_lo, s3, v27, vcc_lo
	v_lshrrev_b32_e32 v28, 9, v26
	v_lshlrev_b64 v[24:25], 2, v[24:25]
	v_mul_u32_u24_e32 v28, 0x708, v28
	v_add_co_u32 v24, vcc_lo, v89, v24
	v_add_co_ci_u32_e32 v25, vcc_lo, v90, v25, vcc_lo
	v_lshlrev_b64 v[65:66], 2, v[28:29]
	v_add_co_u32 v26, vcc_lo, 0x800, v24
	v_add_co_ci_u32_e32 v27, vcc_lo, 0, v25, vcc_lo
	v_add_co_u32 v59, vcc_lo, 0x1800, v24
	v_add_co_ci_u32_e32 v60, vcc_lo, 0, v25, vcc_lo
	;; [unrolled: 2-line block ×4, first 2 shown]
	s_waitcnt vmcnt(9)
	v_mul_f16_sdwa v28, v45, v4 dst_sel:DWORD dst_unused:UNUSED_PAD src0_sel:DWORD src1_sel:WORD_1
	v_mul_f16_sdwa v98, v46, v5 dst_sel:DWORD dst_unused:UNUSED_PAD src0_sel:DWORD src1_sel:WORD_1
	s_waitcnt lgkmcnt(25)
	v_mul_f16_sdwa v99, v71, v4 dst_sel:DWORD dst_unused:UNUSED_PAD src0_sel:DWORD src1_sel:WORD_1
	s_waitcnt lgkmcnt(19)
	v_mul_f16_sdwa v100, v77, v5 dst_sel:DWORD dst_unused:UNUSED_PAD src0_sel:DWORD src1_sel:WORD_1
	s_waitcnt vmcnt(8)
	v_mul_f16_sdwa v101, v43, v0 dst_sel:DWORD dst_unused:UNUSED_PAD src0_sel:DWORD src1_sel:WORD_1
	v_mul_f16_sdwa v102, v44, v1 dst_sel:DWORD dst_unused:UNUSED_PAD src0_sel:DWORD src1_sel:WORD_1
	;; [unrolled: 1-line block ×3, first 2 shown]
	s_waitcnt lgkmcnt(18)
	v_mul_f16_sdwa v104, v78, v1 dst_sel:DWORD dst_unused:UNUSED_PAD src0_sel:DWORD src1_sel:WORD_1
	v_fma_f16 v28, v4, v71, -v28
	v_fma_f16 v71, v5, v77, -v98
	v_fmac_f16_e32 v99, v45, v4
	v_fmac_f16_e32 v100, v46, v5
	v_fma_f16 v4, v0, v72, -v101
	v_fma_f16 v5, v1, v78, -v102
	v_fmac_f16_e32 v103, v43, v0
	v_fmac_f16_e32 v104, v44, v1
	v_add_f16_e32 v0, v28, v71
	s_waitcnt lgkmcnt(1)
	v_add_f16_e32 v43, v97, v28
	v_add_f16_e32 v44, v99, v100
	;; [unrolled: 1-line block ×4, first 2 shown]
	s_waitcnt lgkmcnt(0)
	v_add_f16_e32 v77, v34, v4
	v_add_f16_e32 v78, v103, v104
	;; [unrolled: 1-line block ×3, first 2 shown]
	v_sub_f16_e32 v1, v99, v100
	v_sub_f16_e32 v28, v28, v71
	;; [unrolled: 1-line block ×4, first 2 shown]
	v_fma_f16 v0, -0.5, v0, v97
	v_add_f16_e32 v43, v43, v71
	v_fma_f16 v40, -0.5, v44, v40
	v_add_f16_e32 v44, v45, v100
	;; [unrolled: 2-line block ×4, first 2 shown]
	s_waitcnt vmcnt(7)
	v_mul_f16_sdwa v46, v41, v47 dst_sel:DWORD dst_unused:UNUSED_PAD src0_sel:DWORD src1_sel:WORD_1
	v_mul_f16_sdwa v71, v42, v48 dst_sel:DWORD dst_unused:UNUSED_PAD src0_sel:DWORD src1_sel:WORD_1
	;; [unrolled: 1-line block ×4, first 2 shown]
	v_fmamk_f16 v97, v1, 0xbaee, v0
	v_fmac_f16_e32 v0, 0x3aee, v1
	v_fmamk_f16 v1, v28, 0x3aee, v40
	v_fmac_f16_e32 v40, 0xbaee, v28
	;; [unrolled: 2-line block ×4, first 2 shown]
	v_pack_b32_f16 v4, v45, v5
	v_pack_b32_f16 v5, v44, v43
	v_fma_f16 v43, v47, v79, -v46
	v_fma_f16 v44, v48, v83, -v71
	v_fmac_f16_e32 v77, v41, v47
	v_fmac_f16_e32 v78, v42, v48
	s_waitcnt vmcnt(6)
	v_mul_f16_sdwa v41, v33, v49 dst_sel:DWORD dst_unused:UNUSED_PAD src0_sel:DWORD src1_sel:WORD_1
	v_mul_f16_sdwa v42, v35, v50 dst_sel:DWORD dst_unused:UNUSED_PAD src0_sel:DWORD src1_sel:WORD_1
	v_mul_f16_sdwa v45, v80, v49 dst_sel:DWORD dst_unused:UNUSED_PAD src0_sel:DWORD src1_sel:WORD_1
	v_mul_f16_sdwa v46, v84, v50 dst_sel:DWORD dst_unused:UNUSED_PAD src0_sel:DWORD src1_sel:WORD_1
	global_store_dword v[24:25], v4, off
	v_pack_b32_f16 v4, v39, v34
	global_store_dword v[24:25], v5, off offset:360
	v_pack_b32_f16 v0, v40, v0
	v_add_f16_e32 v5, v43, v44
	v_add_f16_e32 v40, v77, v78
	v_fma_f16 v41, v49, v80, -v41
	v_fma_f16 v42, v50, v84, -v42
	v_fmac_f16_e32 v45, v33, v49
	v_fmac_f16_e32 v46, v35, v50
	s_waitcnt vmcnt(5)
	v_mul_f16_sdwa v33, v30, v37 dst_sel:DWORD dst_unused:UNUSED_PAD src0_sel:DWORD src1_sel:WORD_1
	v_mul_f16_sdwa v35, v31, v38 dst_sel:DWORD dst_unused:UNUSED_PAD src0_sel:DWORD src1_sel:WORD_1
	;; [unrolled: 1-line block ×4, first 2 shown]
	v_pack_b32_f16 v28, v72, v28
	v_pack_b32_f16 v1, v1, v97
	v_sub_f16_e32 v34, v77, v78
	v_add_f16_e32 v39, v73, v43
	v_sub_f16_e32 v43, v43, v44
	v_add_f16_e32 v47, v32, v77
	global_store_dword v[26:27], v4, off offset:1552
	global_store_dword v[59:60], v28, off offset:1056
	;; [unrolled: 1-line block ×4, first 2 shown]
	v_fma_f16 v50, -0.5, v5, v73
	v_fma_f16 v32, -0.5, v40, v32
	v_add_f16_e32 v0, v41, v42
	v_add_f16_e32 v4, v74, v41
	;; [unrolled: 1-line block ×3, first 2 shown]
	v_sub_f16_e32 v28, v41, v42
	v_add_f16_e32 v41, v22, v45
	v_fma_f16 v33, v37, v81, -v33
	v_fma_f16 v35, v38, v85, -v35
	v_fmac_f16_e32 v48, v30, v37
	v_fmac_f16_e32 v49, v31, v38
	s_waitcnt vmcnt(4)
	v_mul_f16_sdwa v30, v21, v51 dst_sel:DWORD dst_unused:UNUSED_PAD src0_sel:DWORD src1_sel:WORD_1
	v_mul_f16_sdwa v31, v23, v52 dst_sel:DWORD dst_unused:UNUSED_PAD src0_sel:DWORD src1_sel:WORD_1
	;; [unrolled: 1-line block ×4, first 2 shown]
	v_add_f16_e32 v39, v39, v44
	v_add_f16_e32 v40, v47, v78
	v_sub_f16_e32 v1, v45, v46
	v_fmamk_f16 v44, v34, 0xbaee, v50
	v_fmac_f16_e32 v50, 0x3aee, v34
	v_fmamk_f16 v34, v43, 0x3aee, v32
	v_fmac_f16_e32 v32, 0xbaee, v43
	v_fma_f16 v43, -0.5, v0, v74
	v_add_f16_e32 v4, v4, v42
	v_fma_f16 v5, -0.5, v5, v22
	v_add_f16_e32 v22, v41, v46
	v_add_f16_e32 v0, v33, v35
	v_sub_f16_e32 v41, v48, v49
	v_add_f16_e32 v42, v91, v33
	v_add_f16_e32 v45, v48, v49
	v_add_f16_e32 v46, v19, v48
	v_fma_f16 v30, v51, v82, -v30
	v_fma_f16 v31, v52, v86, -v31
	v_fmac_f16_e32 v37, v21, v51
	v_fmac_f16_e32 v38, v23, v52
	s_waitcnt vmcnt(3)
	v_mul_f16_sdwa v21, v17, v53 dst_sel:DWORD dst_unused:UNUSED_PAD src0_sel:DWORD src1_sel:WORD_1
	v_mul_f16_sdwa v23, v20, v54 dst_sel:DWORD dst_unused:UNUSED_PAD src0_sel:DWORD src1_sel:WORD_1
	v_mul_f16_sdwa v47, v67, v53 dst_sel:DWORD dst_unused:UNUSED_PAD src0_sel:DWORD src1_sel:WORD_1
	v_mul_f16_sdwa v48, v87, v54 dst_sel:DWORD dst_unused:UNUSED_PAD src0_sel:DWORD src1_sel:WORD_1
	v_sub_f16_e32 v33, v33, v35
	v_fmamk_f16 v51, v1, 0xbaee, v43
	v_fmac_f16_e32 v43, 0x3aee, v1
	v_fmamk_f16 v52, v28, 0x3aee, v5
	v_fmac_f16_e32 v5, 0xbaee, v28
	v_fma_f16 v71, -0.5, v0, v91
	v_add_f16_e32 v35, v42, v35
	v_fma_f16 v19, -0.5, v45, v19
	v_add_f16_e32 v42, v46, v49
	v_add_f16_e32 v0, v30, v31
	v_sub_f16_e32 v1, v37, v38
	v_add_f16_e32 v28, v92, v30
	v_add_f16_e32 v45, v37, v38
	v_add_f16_e32 v37, v16, v37
	v_fma_f16 v21, v53, v67, -v21
	v_fma_f16 v23, v54, v87, -v23
	v_fmac_f16_e32 v47, v17, v53
	v_fmac_f16_e32 v48, v20, v54
	s_waitcnt vmcnt(2)
	v_mul_f16_sdwa v17, v15, v55 dst_sel:DWORD dst_unused:UNUSED_PAD src0_sel:DWORD src1_sel:WORD_1
	v_mul_f16_sdwa v20, v18, v56 dst_sel:DWORD dst_unused:UNUSED_PAD src0_sel:DWORD src1_sel:WORD_1
	v_mul_f16_sdwa v46, v68, v55 dst_sel:DWORD dst_unused:UNUSED_PAD src0_sel:DWORD src1_sel:WORD_1
	v_mul_f16_sdwa v49, v88, v56 dst_sel:DWORD dst_unused:UNUSED_PAD src0_sel:DWORD src1_sel:WORD_1
	;; [unrolled: 23-line block ×3, first 2 shown]
	s_waitcnt vmcnt(0)
	v_mul_f16_sdwa v56, v10, v2 dst_sel:DWORD dst_unused:UNUSED_PAD src0_sel:DWORD src1_sel:WORD_1
	v_mul_f16_sdwa v67, v9, v3 dst_sel:DWORD dst_unused:UNUSED_PAD src0_sel:DWORD src1_sel:WORD_1
	;; [unrolled: 1-line block ×4, first 2 shown]
	v_sub_f16_e32 v21, v21, v23
	v_fmamk_f16 v73, v1, 0xbaee, v33
	v_fmac_f16_e32 v33, 0x3aee, v1
	v_fmamk_f16 v74, v30, 0x3aee, v16
	v_fmac_f16_e32 v16, 0xbaee, v30
	v_fma_f16 v30, -0.5, v0, v93
	v_add_f16_e32 v23, v38, v23
	v_fma_f16 v14, -0.5, v45, v14
	v_add_f16_e32 v38, v47, v48
	v_add_f16_e32 v0, v17, v20
	v_sub_f16_e32 v1, v46, v49
	v_add_f16_e32 v45, v94, v17
	v_add_f16_e32 v47, v46, v49
	;; [unrolled: 1-line block ×3, first 2 shown]
	v_fma_f16 v15, v57, v69, -v15
	v_fma_f16 v18, v58, v75, -v18
	v_fmac_f16_e32 v54, v13, v57
	v_fmac_f16_e32 v55, v11, v58
	v_fma_f16 v11, v2, v70, -v56
	v_fma_f16 v13, v3, v76, -v67
	v_fmac_f16_e32 v68, v10, v2
	v_fmac_f16_e32 v72, v9, v3
	v_sub_f16_e32 v17, v17, v20
	v_fmamk_f16 v9, v37, 0xbaee, v30
	v_fmac_f16_e32 v30, 0x3aee, v37
	v_fmamk_f16 v10, v21, 0x3aee, v14
	v_fmac_f16_e32 v14, 0xbaee, v21
	v_fma_f16 v0, -0.5, v0, v94
	v_add_f16_e32 v2, v45, v20
	v_fma_f16 v3, -0.5, v47, v12
	v_add_f16_e32 v12, v46, v49
	v_add_f16_e32 v20, v15, v18
	v_sub_f16_e32 v21, v54, v55
	v_add_f16_e32 v37, v95, v15
	v_add_f16_e32 v45, v54, v55
	;; [unrolled: 1-line block ×7, first 2 shown]
	v_sub_f16_e32 v15, v15, v18
	v_sub_f16_e32 v48, v68, v72
	;; [unrolled: 1-line block ×3, first 2 shown]
	v_fmamk_f16 v57, v1, 0xbaee, v0
	v_fmac_f16_e32 v0, 0x3aee, v1
	v_fmamk_f16 v1, v17, 0x3aee, v3
	v_fmac_f16_e32 v3, 0xbaee, v17
	v_fma_f16 v17, -0.5, v20, v95
	v_add_f16_e32 v18, v37, v18
	v_fma_f16 v8, -0.5, v45, v8
	v_fma_f16 v37, -0.5, v47, v96
	;; [unrolled: 1-line block ×3, first 2 shown]
	v_add_f16_e32 v20, v46, v55
	v_add_f16_e32 v13, v49, v13
	;; [unrolled: 1-line block ×3, first 2 shown]
	v_pack_b32_f16 v12, v12, v2
	v_fmamk_f16 v2, v21, 0xbaee, v17
	v_fmac_f16_e32 v17, 0x3aee, v21
	v_fmamk_f16 v21, v15, 0x3aee, v8
	v_fmac_f16_e32 v8, 0xbaee, v15
	;; [unrolled: 2-line block ×4, first 2 shown]
	v_pack_b32_f16 v13, v45, v13
	v_pack_b32_f16 v11, v20, v18
	;; [unrolled: 1-line block ×8, first 2 shown]
	global_store_dword v[24:25], v13, off offset:720
	global_store_dword v[24:25], v11, off offset:1080
	;; [unrolled: 1-line block ×6, first 2 shown]
	v_add_co_u32 v0, vcc_lo, v24, v65
	v_add_co_ci_u32_e32 v1, vcc_lo, v25, v66, vcc_lo
	v_mul_hi_u32 v11, 0x91a2b3c5, v36
	v_add_co_u32 v2, vcc_lo, 0x1000, v0
	v_pack_b32_f16 v6, v38, v23
	v_pack_b32_f16 v8, v14, v30
	v_add_co_ci_u32_e32 v3, vcc_lo, 0, v1, vcc_lo
	global_store_dword v[24:25], v12, off offset:1440
	global_store_dword v[61:62], v18, off offset:944
	;; [unrolled: 1-line block ×5, first 2 shown]
	v_add_co_u32 v0, vcc_lo, 0x2000, v0
	v_pack_b32_f16 v2, v10, v9
	v_add_co_ci_u32_e32 v1, vcc_lo, 0, v1, vcc_lo
	v_pack_b32_f16 v6, v31, v28
	v_lshrrev_b32_e32 v3, 9, v11
	v_pack_b32_f16 v8, v16, v33
	v_pack_b32_f16 v9, v74, v73
	global_store_dword v[0:1], v2, off offset:808
	global_store_dword v[26:27], v6, off offset:112
	;; [unrolled: 1-line block ×4, first 2 shown]
	v_mul_hi_u32 v6, 0x91a2b3c5, v7
	v_mad_u32_u24 v28, 0x708, v3, v36
	v_pack_b32_f16 v2, v42, v35
	v_pack_b32_f16 v3, v19, v71
	;; [unrolled: 1-line block ×4, first 2 shown]
	v_lshlrev_b64 v[0:1], 2, v[28:29]
	global_store_dword v[26:27], v2, off offset:472
	v_lshrrev_b32_e32 v2, 9, v6
	v_pack_b32_f16 v10, v5, v43
	v_pack_b32_f16 v11, v52, v51
	;; [unrolled: 1-line block ×3, first 2 shown]
	v_add_co_u32 v0, vcc_lo, v89, v0
	v_mad_u32_u24 v28, 0x708, v2, v7
	v_add_co_ci_u32_e32 v1, vcc_lo, v90, v1, vcc_lo
	global_store_dword v[61:62], v3, off offset:2024
	global_store_dword v[63:64], v8, off offset:1528
	global_store_dword v[0:1], v4, off
	v_add_co_u32 v2, vcc_lo, 0x800, v0
	v_lshlrev_b64 v[4:5], 2, v[28:29]
	v_add_co_ci_u32_e32 v3, vcc_lo, 0, v1, vcc_lo
	v_add_co_u32 v0, vcc_lo, 0x1800, v0
	v_add_co_ci_u32_e32 v1, vcc_lo, 0, v1, vcc_lo
	v_add_co_u32 v4, vcc_lo, v89, v4
	v_add_co_ci_u32_e32 v5, vcc_lo, v90, v5, vcc_lo
	v_pack_b32_f16 v13, v32, v50
	v_add_co_u32 v6, vcc_lo, 0x800, v4
	v_add_co_ci_u32_e32 v7, vcc_lo, 0, v5, vcc_lo
	v_add_co_u32 v8, vcc_lo, 0x1800, v4
	v_pack_b32_f16 v14, v34, v44
	v_add_co_ci_u32_e32 v9, vcc_lo, 0, v5, vcc_lo
	global_store_dword v[2:3], v10, off offset:1552
	global_store_dword v[0:1], v11, off offset:1056
	global_store_dword v[4:5], v12, off
	global_store_dword v[6:7], v13, off offset:1552
	global_store_dword v[8:9], v14, off offset:1056
.LBB0_13:
	s_endpgm
	.section	.rodata,"a",@progbits
	.p2align	6, 0x0
	.amdhsa_kernel fft_rtc_back_len2700_factors_3_10_10_3_3_wgs_90_tpt_90_halfLds_half_ip_CI_unitstride_sbrr_dirReg
		.amdhsa_group_segment_fixed_size 0
		.amdhsa_private_segment_fixed_size 0
		.amdhsa_kernarg_size 88
		.amdhsa_user_sgpr_count 6
		.amdhsa_user_sgpr_private_segment_buffer 1
		.amdhsa_user_sgpr_dispatch_ptr 0
		.amdhsa_user_sgpr_queue_ptr 0
		.amdhsa_user_sgpr_kernarg_segment_ptr 1
		.amdhsa_user_sgpr_dispatch_id 0
		.amdhsa_user_sgpr_flat_scratch_init 0
		.amdhsa_user_sgpr_private_segment_size 0
		.amdhsa_wavefront_size32 1
		.amdhsa_uses_dynamic_stack 0
		.amdhsa_system_sgpr_private_segment_wavefront_offset 0
		.amdhsa_system_sgpr_workgroup_id_x 1
		.amdhsa_system_sgpr_workgroup_id_y 0
		.amdhsa_system_sgpr_workgroup_id_z 0
		.amdhsa_system_sgpr_workgroup_info 0
		.amdhsa_system_vgpr_workitem_id 0
		.amdhsa_next_free_vgpr 110
		.amdhsa_next_free_sgpr 21
		.amdhsa_reserve_vcc 1
		.amdhsa_reserve_flat_scratch 0
		.amdhsa_float_round_mode_32 0
		.amdhsa_float_round_mode_16_64 0
		.amdhsa_float_denorm_mode_32 3
		.amdhsa_float_denorm_mode_16_64 3
		.amdhsa_dx10_clamp 1
		.amdhsa_ieee_mode 1
		.amdhsa_fp16_overflow 0
		.amdhsa_workgroup_processor_mode 1
		.amdhsa_memory_ordered 1
		.amdhsa_forward_progress 0
		.amdhsa_shared_vgpr_count 0
		.amdhsa_exception_fp_ieee_invalid_op 0
		.amdhsa_exception_fp_denorm_src 0
		.amdhsa_exception_fp_ieee_div_zero 0
		.amdhsa_exception_fp_ieee_overflow 0
		.amdhsa_exception_fp_ieee_underflow 0
		.amdhsa_exception_fp_ieee_inexact 0
		.amdhsa_exception_int_div_zero 0
	.end_amdhsa_kernel
	.text
.Lfunc_end0:
	.size	fft_rtc_back_len2700_factors_3_10_10_3_3_wgs_90_tpt_90_halfLds_half_ip_CI_unitstride_sbrr_dirReg, .Lfunc_end0-fft_rtc_back_len2700_factors_3_10_10_3_3_wgs_90_tpt_90_halfLds_half_ip_CI_unitstride_sbrr_dirReg
                                        ; -- End function
	.section	.AMDGPU.csdata,"",@progbits
; Kernel info:
; codeLenInByte = 18720
; NumSgprs: 23
; NumVgprs: 110
; ScratchSize: 0
; MemoryBound: 0
; FloatMode: 240
; IeeeMode: 1
; LDSByteSize: 0 bytes/workgroup (compile time only)
; SGPRBlocks: 2
; VGPRBlocks: 13
; NumSGPRsForWavesPerEU: 23
; NumVGPRsForWavesPerEU: 110
; Occupancy: 9
; WaveLimiterHint : 1
; COMPUTE_PGM_RSRC2:SCRATCH_EN: 0
; COMPUTE_PGM_RSRC2:USER_SGPR: 6
; COMPUTE_PGM_RSRC2:TRAP_HANDLER: 0
; COMPUTE_PGM_RSRC2:TGID_X_EN: 1
; COMPUTE_PGM_RSRC2:TGID_Y_EN: 0
; COMPUTE_PGM_RSRC2:TGID_Z_EN: 0
; COMPUTE_PGM_RSRC2:TIDIG_COMP_CNT: 0
	.text
	.p2alignl 6, 3214868480
	.fill 48, 4, 3214868480
	.type	__hip_cuid_76bae9ae548683f1,@object ; @__hip_cuid_76bae9ae548683f1
	.section	.bss,"aw",@nobits
	.globl	__hip_cuid_76bae9ae548683f1
__hip_cuid_76bae9ae548683f1:
	.byte	0                               ; 0x0
	.size	__hip_cuid_76bae9ae548683f1, 1

	.ident	"AMD clang version 19.0.0git (https://github.com/RadeonOpenCompute/llvm-project roc-6.4.0 25133 c7fe45cf4b819c5991fe208aaa96edf142730f1d)"
	.section	".note.GNU-stack","",@progbits
	.addrsig
	.addrsig_sym __hip_cuid_76bae9ae548683f1
	.amdgpu_metadata
---
amdhsa.kernels:
  - .args:
      - .actual_access:  read_only
        .address_space:  global
        .offset:         0
        .size:           8
        .value_kind:     global_buffer
      - .offset:         8
        .size:           8
        .value_kind:     by_value
      - .actual_access:  read_only
        .address_space:  global
        .offset:         16
        .size:           8
        .value_kind:     global_buffer
      - .actual_access:  read_only
        .address_space:  global
        .offset:         24
        .size:           8
        .value_kind:     global_buffer
      - .offset:         32
        .size:           8
        .value_kind:     by_value
      - .actual_access:  read_only
        .address_space:  global
        .offset:         40
        .size:           8
        .value_kind:     global_buffer
      - .actual_access:  read_only
        .address_space:  global
        .offset:         48
        .size:           8
        .value_kind:     global_buffer
      - .offset:         56
        .size:           4
        .value_kind:     by_value
      - .actual_access:  read_only
        .address_space:  global
        .offset:         64
        .size:           8
        .value_kind:     global_buffer
      - .actual_access:  read_only
        .address_space:  global
        .offset:         72
        .size:           8
        .value_kind:     global_buffer
      - .address_space:  global
        .offset:         80
        .size:           8
        .value_kind:     global_buffer
    .group_segment_fixed_size: 0
    .kernarg_segment_align: 8
    .kernarg_segment_size: 88
    .language:       OpenCL C
    .language_version:
      - 2
      - 0
    .max_flat_workgroup_size: 90
    .name:           fft_rtc_back_len2700_factors_3_10_10_3_3_wgs_90_tpt_90_halfLds_half_ip_CI_unitstride_sbrr_dirReg
    .private_segment_fixed_size: 0
    .sgpr_count:     23
    .sgpr_spill_count: 0
    .symbol:         fft_rtc_back_len2700_factors_3_10_10_3_3_wgs_90_tpt_90_halfLds_half_ip_CI_unitstride_sbrr_dirReg.kd
    .uniform_work_group_size: 1
    .uses_dynamic_stack: false
    .vgpr_count:     110
    .vgpr_spill_count: 0
    .wavefront_size: 32
    .workgroup_processor_mode: 1
amdhsa.target:   amdgcn-amd-amdhsa--gfx1030
amdhsa.version:
  - 1
  - 2
...

	.end_amdgpu_metadata
